;; amdgpu-corpus repo=ROCm/composable_kernel kind=compiled arch=gfx90a opt=O3
	.text
	.amdgcn_target "amdgcn-amd-amdhsa--gfx90a"
	.amdhsa_code_object_version 6
	.section	.text._ZN2ckL12flush_icacheEv,"axG",@progbits,_ZN2ckL12flush_icacheEv,comdat
	.globl	_ZN2ckL12flush_icacheEv         ; -- Begin function _ZN2ckL12flush_icacheEv
	.p2align	8
	.type	_ZN2ckL12flush_icacheEv,@function
_ZN2ckL12flush_icacheEv:                ; @_ZN2ckL12flush_icacheEv
; %bb.0:
	;;#ASMSTART
	s_icache_inv 
	s_nop 0 
	s_nop 0 
	;; [unrolled: 1-line block ×16, first 2 shown]
	
	;;#ASMEND
	s_endpgm
	.section	.rodata,"a",@progbits
	.p2align	6, 0x0
	.amdhsa_kernel _ZN2ckL12flush_icacheEv
		.amdhsa_group_segment_fixed_size 0
		.amdhsa_private_segment_fixed_size 0
		.amdhsa_kernarg_size 0
		.amdhsa_user_sgpr_count 4
		.amdhsa_user_sgpr_private_segment_buffer 1
		.amdhsa_user_sgpr_dispatch_ptr 0
		.amdhsa_user_sgpr_queue_ptr 0
		.amdhsa_user_sgpr_kernarg_segment_ptr 0
		.amdhsa_user_sgpr_dispatch_id 0
		.amdhsa_user_sgpr_flat_scratch_init 0
		.amdhsa_user_sgpr_kernarg_preload_length 0
		.amdhsa_user_sgpr_kernarg_preload_offset 0
		.amdhsa_user_sgpr_private_segment_size 0
		.amdhsa_uses_dynamic_stack 0
		.amdhsa_system_sgpr_private_segment_wavefront_offset 0
		.amdhsa_system_sgpr_workgroup_id_x 1
		.amdhsa_system_sgpr_workgroup_id_y 0
		.amdhsa_system_sgpr_workgroup_id_z 0
		.amdhsa_system_sgpr_workgroup_info 0
		.amdhsa_system_vgpr_workitem_id 0
		.amdhsa_next_free_vgpr 1
		.amdhsa_next_free_sgpr 0
		.amdhsa_accum_offset 4
		.amdhsa_reserve_vcc 0
		.amdhsa_reserve_flat_scratch 0
		.amdhsa_float_round_mode_32 0
		.amdhsa_float_round_mode_16_64 0
		.amdhsa_float_denorm_mode_32 3
		.amdhsa_float_denorm_mode_16_64 3
		.amdhsa_dx10_clamp 1
		.amdhsa_ieee_mode 1
		.amdhsa_fp16_overflow 0
		.amdhsa_tg_split 0
		.amdhsa_exception_fp_ieee_invalid_op 0
		.amdhsa_exception_fp_denorm_src 0
		.amdhsa_exception_fp_ieee_div_zero 0
		.amdhsa_exception_fp_ieee_overflow 0
		.amdhsa_exception_fp_ieee_underflow 0
		.amdhsa_exception_fp_ieee_inexact 0
		.amdhsa_exception_int_div_zero 0
	.end_amdhsa_kernel
	.section	.text._ZN2ckL12flush_icacheEv,"axG",@progbits,_ZN2ckL12flush_icacheEv,comdat
.Lfunc_end0:
	.size	_ZN2ckL12flush_icacheEv, .Lfunc_end0-_ZN2ckL12flush_icacheEv
                                        ; -- End function
	.section	.AMDGPU.csdata,"",@progbits
; Kernel info:
; codeLenInByte = 140
; NumSgprs: 4
; NumVgprs: 0
; NumAgprs: 0
; TotalNumVgprs: 0
; ScratchSize: 0
; MemoryBound: 0
; FloatMode: 240
; IeeeMode: 1
; LDSByteSize: 0 bytes/workgroup (compile time only)
; SGPRBlocks: 0
; VGPRBlocks: 0
; NumSGPRsForWavesPerEU: 4
; NumVGPRsForWavesPerEU: 1
; AccumOffset: 4
; Occupancy: 8
; WaveLimiterHint : 0
; COMPUTE_PGM_RSRC2:SCRATCH_EN: 0
; COMPUTE_PGM_RSRC2:USER_SGPR: 4
; COMPUTE_PGM_RSRC2:TRAP_HANDLER: 0
; COMPUTE_PGM_RSRC2:TGID_X_EN: 1
; COMPUTE_PGM_RSRC2:TGID_Y_EN: 0
; COMPUTE_PGM_RSRC2:TGID_Z_EN: 0
; COMPUTE_PGM_RSRC2:TIDIG_COMP_CNT: 0
; COMPUTE_PGM_RSRC3_GFX90A:ACCUM_OFFSET: 0
; COMPUTE_PGM_RSRC3_GFX90A:TG_SPLIT: 0
	.section	.text._ZN2ck27kernel_gemm_xdl_cshuffle_v3INS_28GridwiseGemm_xdl_cshuffle_v3INS_13tensor_layout4gemm8RowMajorENS3_11ColumnMajorES4_ttfttNS_16tensor_operation12element_wise11PassThroughES8_S8_LNS6_6device18GemmSpecializationE0ELi256ELi128ELi128ELi64ELi8ELi8ELi16ELi16ELi4ELi4ENS_8SequenceIJLi8ELi32ELi1EEEENSB_IJLi1ELi0ELi2EEEESD_Li2ELi8ELi8ELb0ELi0ESC_SD_SD_Li2ELi8ELi8ELb0ELi0ELi1ELi2ENSB_IJLi1ELi32ELi1ELi8EEEELi8ELNS_26BlockGemmPipelineSchedulerE0ELNS_24BlockGemmPipelineVersionE2EttLb0ELb0ELb0ELi0ELb0EEELb1ELNS_25InMemoryDataOperationEnumE1ELi2ELNS_10TailNumberE10EEEvNT_8ArgumentE,"axG",@progbits,_ZN2ck27kernel_gemm_xdl_cshuffle_v3INS_28GridwiseGemm_xdl_cshuffle_v3INS_13tensor_layout4gemm8RowMajorENS3_11ColumnMajorES4_ttfttNS_16tensor_operation12element_wise11PassThroughES8_S8_LNS6_6device18GemmSpecializationE0ELi256ELi128ELi128ELi64ELi8ELi8ELi16ELi16ELi4ELi4ENS_8SequenceIJLi8ELi32ELi1EEEENSB_IJLi1ELi0ELi2EEEESD_Li2ELi8ELi8ELb0ELi0ESC_SD_SD_Li2ELi8ELi8ELb0ELi0ELi1ELi2ENSB_IJLi1ELi32ELi1ELi8EEEELi8ELNS_26BlockGemmPipelineSchedulerE0ELNS_24BlockGemmPipelineVersionE2EttLb0ELb0ELb0ELi0ELb0EEELb1ELNS_25InMemoryDataOperationEnumE1ELi2ELNS_10TailNumberE10EEEvNT_8ArgumentE,comdat
	.protected	_ZN2ck27kernel_gemm_xdl_cshuffle_v3INS_28GridwiseGemm_xdl_cshuffle_v3INS_13tensor_layout4gemm8RowMajorENS3_11ColumnMajorES4_ttfttNS_16tensor_operation12element_wise11PassThroughES8_S8_LNS6_6device18GemmSpecializationE0ELi256ELi128ELi128ELi64ELi8ELi8ELi16ELi16ELi4ELi4ENS_8SequenceIJLi8ELi32ELi1EEEENSB_IJLi1ELi0ELi2EEEESD_Li2ELi8ELi8ELb0ELi0ESC_SD_SD_Li2ELi8ELi8ELb0ELi0ELi1ELi2ENSB_IJLi1ELi32ELi1ELi8EEEELi8ELNS_26BlockGemmPipelineSchedulerE0ELNS_24BlockGemmPipelineVersionE2EttLb0ELb0ELb0ELi0ELb0EEELb1ELNS_25InMemoryDataOperationEnumE1ELi2ELNS_10TailNumberE10EEEvNT_8ArgumentE ; -- Begin function _ZN2ck27kernel_gemm_xdl_cshuffle_v3INS_28GridwiseGemm_xdl_cshuffle_v3INS_13tensor_layout4gemm8RowMajorENS3_11ColumnMajorES4_ttfttNS_16tensor_operation12element_wise11PassThroughES8_S8_LNS6_6device18GemmSpecializationE0ELi256ELi128ELi128ELi64ELi8ELi8ELi16ELi16ELi4ELi4ENS_8SequenceIJLi8ELi32ELi1EEEENSB_IJLi1ELi0ELi2EEEESD_Li2ELi8ELi8ELb0ELi0ESC_SD_SD_Li2ELi8ELi8ELb0ELi0ELi1ELi2ENSB_IJLi1ELi32ELi1ELi8EEEELi8ELNS_26BlockGemmPipelineSchedulerE0ELNS_24BlockGemmPipelineVersionE2EttLb0ELb0ELb0ELi0ELb0EEELb1ELNS_25InMemoryDataOperationEnumE1ELi2ELNS_10TailNumberE10EEEvNT_8ArgumentE
	.globl	_ZN2ck27kernel_gemm_xdl_cshuffle_v3INS_28GridwiseGemm_xdl_cshuffle_v3INS_13tensor_layout4gemm8RowMajorENS3_11ColumnMajorES4_ttfttNS_16tensor_operation12element_wise11PassThroughES8_S8_LNS6_6device18GemmSpecializationE0ELi256ELi128ELi128ELi64ELi8ELi8ELi16ELi16ELi4ELi4ENS_8SequenceIJLi8ELi32ELi1EEEENSB_IJLi1ELi0ELi2EEEESD_Li2ELi8ELi8ELb0ELi0ESC_SD_SD_Li2ELi8ELi8ELb0ELi0ELi1ELi2ENSB_IJLi1ELi32ELi1ELi8EEEELi8ELNS_26BlockGemmPipelineSchedulerE0ELNS_24BlockGemmPipelineVersionE2EttLb0ELb0ELb0ELi0ELb0EEELb1ELNS_25InMemoryDataOperationEnumE1ELi2ELNS_10TailNumberE10EEEvNT_8ArgumentE
	.p2align	8
	.type	_ZN2ck27kernel_gemm_xdl_cshuffle_v3INS_28GridwiseGemm_xdl_cshuffle_v3INS_13tensor_layout4gemm8RowMajorENS3_11ColumnMajorES4_ttfttNS_16tensor_operation12element_wise11PassThroughES8_S8_LNS6_6device18GemmSpecializationE0ELi256ELi128ELi128ELi64ELi8ELi8ELi16ELi16ELi4ELi4ENS_8SequenceIJLi8ELi32ELi1EEEENSB_IJLi1ELi0ELi2EEEESD_Li2ELi8ELi8ELb0ELi0ESC_SD_SD_Li2ELi8ELi8ELb0ELi0ELi1ELi2ENSB_IJLi1ELi32ELi1ELi8EEEELi8ELNS_26BlockGemmPipelineSchedulerE0ELNS_24BlockGemmPipelineVersionE2EttLb0ELb0ELb0ELi0ELb0EEELb1ELNS_25InMemoryDataOperationEnumE1ELi2ELNS_10TailNumberE10EEEvNT_8ArgumentE,@function
_ZN2ck27kernel_gemm_xdl_cshuffle_v3INS_28GridwiseGemm_xdl_cshuffle_v3INS_13tensor_layout4gemm8RowMajorENS3_11ColumnMajorES4_ttfttNS_16tensor_operation12element_wise11PassThroughES8_S8_LNS6_6device18GemmSpecializationE0ELi256ELi128ELi128ELi64ELi8ELi8ELi16ELi16ELi4ELi4ENS_8SequenceIJLi8ELi32ELi1EEEENSB_IJLi1ELi0ELi2EEEESD_Li2ELi8ELi8ELb0ELi0ESC_SD_SD_Li2ELi8ELi8ELb0ELi0ELi1ELi2ENSB_IJLi1ELi32ELi1ELi8EEEELi8ELNS_26BlockGemmPipelineSchedulerE0ELNS_24BlockGemmPipelineVersionE2EttLb0ELb0ELb0ELi0ELb0EEELb1ELNS_25InMemoryDataOperationEnumE1ELi2ELNS_10TailNumberE10EEEvNT_8ArgumentE: ; @_ZN2ck27kernel_gemm_xdl_cshuffle_v3INS_28GridwiseGemm_xdl_cshuffle_v3INS_13tensor_layout4gemm8RowMajorENS3_11ColumnMajorES4_ttfttNS_16tensor_operation12element_wise11PassThroughES8_S8_LNS6_6device18GemmSpecializationE0ELi256ELi128ELi128ELi64ELi8ELi8ELi16ELi16ELi4ELi4ENS_8SequenceIJLi8ELi32ELi1EEEENSB_IJLi1ELi0ELi2EEEESD_Li2ELi8ELi8ELb0ELi0ESC_SD_SD_Li2ELi8ELi8ELb0ELi0ELi1ELi2ENSB_IJLi1ELi32ELi1ELi8EEEELi8ELNS_26BlockGemmPipelineSchedulerE0ELNS_24BlockGemmPipelineVersionE2EttLb0ELb0ELb0ELi0ELb0EEELb1ELNS_25InMemoryDataOperationEnumE1ELi2ELNS_10TailNumberE10EEEvNT_8ArgumentE
; %bb.0:
	s_load_dwordx4 s[8:11], s[4:5], 0x10
	s_load_dword s13, s[4:5], 0x20
	s_load_dword s16, s[4:5], 0x28
	s_load_dword s15, s[4:5], 0x34
	s_load_dword s14, s[4:5], 0x3c
	s_load_dwordx4 s[0:3], s[4:5], 0x50
	s_waitcnt lgkmcnt(0)
	s_add_i32 s4, s8, -1
	s_mov_b32 s17, 0
	s_cmpk_lt_u32 s4, 0x80
	s_movk_i32 s12, 0x80
	s_cbranch_scc1 .LBB1_8
; %bb.1:
	s_add_i32 s4, s9, -1
	s_cmpk_lt_u32 s4, 0x80
	s_mov_b32 s4, 0
	s_cbranch_scc1 .LBB1_7
; %bb.2:
	s_add_i32 s4, s8, 0x7f
	s_ashr_i32 s5, s4, 31
	s_lshr_b32 s5, s5, 25
	s_add_i32 s4, s4, s5
	s_ashr_i32 s18, s4, 7
	s_add_i32 s4, s9, 0x7f
	s_ashr_i32 s5, s4, 31
	s_lshr_b32 s5, s5, 25
	s_add_i32 s4, s4, s5
	s_ashr_i32 s17, s4, 7
	s_mul_i32 s4, s17, s18
	s_add_i32 s5, s4, 7
	s_ashr_i32 s19, s5, 31
	s_lshr_b32 s19, s19, 29
	s_add_i32 s5, s5, s19
	s_ashr_i32 s19, s5, 3
	s_and_b32 s5, s5, -8
	s_sub_i32 s20, s4, s5
	s_ashr_i32 s4, s6, 31
	s_lshr_b32 s4, s4, 29
	s_add_i32 s22, s6, s4
	s_and_b32 s4, s22, -8
	s_add_i32 s20, s20, 8
	s_sub_i32 s21, s6, s4
	s_cmp_gt_i32 s21, s20
	s_cbranch_scc1 .LBB1_4
; %bb.3:
	s_mul_i32 s6, s19, s21
	s_ashr_i32 s4, s22, 3
	s_cbranch_execz .LBB1_5
	s_branch .LBB1_6
.LBB1_4:
                                        ; implicit-def: $sgpr6
	s_ashr_i32 s4, s22, 3
.LBB1_5:
	s_add_i32 s5, s19, -1
	s_mul_i32 s5, s5, s21
	s_add_i32 s6, s20, s5
.LBB1_6:
	s_abs_i32 s5, s17
	v_cvt_f32_u32_e32 v1, s5
	s_sub_i32 s20, 0, s5
	s_add_i32 s4, s6, s4
	s_abs_i32 s19, s4
	v_rcp_iflag_f32_e32 v1, v1
	s_xor_b32 s6, s4, s17
	s_ashr_i32 s6, s6, 31
	v_mul_f32_e32 v1, 0x4f7ffffe, v1
	v_cvt_u32_f32_e32 v1, v1
	v_readfirstlane_b32 s21, v1
	s_mul_i32 s20, s20, s21
	s_mul_hi_u32 s20, s21, s20
	s_add_i32 s21, s21, s20
	s_mul_hi_u32 s20, s19, s21
	s_mul_i32 s21, s20, s5
	s_sub_i32 s19, s19, s21
	s_add_i32 s22, s20, 1
	s_sub_i32 s21, s19, s5
	s_cmp_ge_u32 s19, s5
	s_cselect_b32 s20, s22, s20
	s_cselect_b32 s19, s21, s19
	s_add_i32 s21, s20, 1
	s_cmp_ge_u32 s19, s5
	s_cselect_b32 s5, s21, s20
	s_xor_b32 s5, s5, s6
	s_lshr_b32 s19, s18, 30
	s_sub_i32 s5, s5, s6
	s_add_i32 s19, s18, s19
	s_mul_i32 s6, s5, s17
	s_sub_i32 s4, s4, s6
	s_and_b32 s6, s19, -4
	s_sub_i32 s18, s18, s6
	s_cmp_ge_i32 s5, s6
	s_cselect_b32 s6, s18, 4
	s_abs_i32 s19, s6
	v_cvt_f32_u32_e32 v1, s19
	s_ashr_i32 s18, s5, 31
	s_lshr_b32 s18, s18, 30
	s_add_i32 s18, s5, s18
	v_rcp_iflag_f32_e32 v1, v1
	s_and_b32 s18, s18, -4
	s_sub_i32 s18, s5, s18
	s_sub_i32 s21, 0, s19
	v_mul_f32_e32 v1, 0x4f7ffffe, v1
	v_cvt_u32_f32_e32 v1, v1
	s_mul_i32 s17, s18, s17
	s_add_i32 s17, s17, s4
	s_abs_i32 s20, s17
	v_readfirstlane_b32 s22, v1
	s_mul_i32 s21, s21, s22
	s_mul_hi_u32 s21, s22, s21
	s_add_i32 s22, s22, s21
	s_mul_hi_u32 s21, s20, s22
	s_mul_i32 s22, s21, s19
	s_xor_b32 s4, s17, s6
	s_sub_i32 s20, s20, s22
	s_ashr_i32 s4, s4, 31
	s_add_i32 s22, s21, 1
	s_sub_i32 s23, s20, s19
	s_cmp_ge_u32 s20, s19
	s_cselect_b32 s21, s22, s21
	s_cselect_b32 s20, s23, s20
	s_add_i32 s22, s21, 1
	s_cmp_ge_u32 s20, s19
	s_cselect_b32 s19, s22, s21
	s_xor_b32 s19, s19, s4
	s_sub_i32 s4, s19, s4
	s_mul_i32 s6, s4, s6
	s_sub_i32 s6, s17, s6
	s_add_i32 s6, s6, s5
	s_sub_i32 s6, s6, s18
.LBB1_7:
	s_mov_b32 s17, s6
	s_mov_b32 s6, s4
.LBB1_8:
	s_add_i32 s5, s16, -1
	s_mul_i32 s16, s5, s15
	s_sub_i32 s10, s10, s16
	s_mul_i32 s4, s15, s7
	s_cmp_lt_u32 s7, s5
	s_cselect_b32 s7, s15, s10
	s_ashr_i32 s5, s4, 31
	s_lshl_b64 s[4:5], s[4:5], 1
	s_add_u32 s0, s0, s4
	s_addc_u32 s1, s1, s5
	s_add_u32 s4, s2, s4
	s_addc_u32 s5, s3, s5
	;; [unrolled: 2-line block ×4, first 2 shown]
	v_lshrrev_b32_e32 v55, 1, v0
	s_mul_i32 s8, s3, s13
	s_lshl_b32 s3, s17, 7
	s_lshl_b32 s6, s6, 7
	v_and_b32_e32 v1, 0x7c, v55
	v_and_b32_e32 v54, 7, v0
	v_add_u32_e32 v56, s3, v1
	v_add_u32_e32 v59, s6, v1
	v_lshlrev_b32_e32 v2, 3, v54
	v_mul_lo_u32 v57, v56, s11
	v_and_b32_e32 v34, 4, v55
	v_mul_lo_u32 v60, v59, s13
	v_add_u32_e32 v3, v57, v2
	v_xor_b32_e32 v58, v34, v54
	v_lshlrev_b32_e32 v4, 6, v1
	v_add_u32_e32 v18, v60, v2
	v_and_b32_e32 v1, 63, v0
	v_and_b32_e32 v2, 48, v0
	v_lshl_or_b32 v35, v58, 3, v4
	v_sub_u32_e32 v4, v1, v2
	v_lshrrev_b32_e32 v1, 3, v0
	v_and_b32_e32 v1, 16, v1
	v_add_u32_e32 v36, v4, v1
	v_lshrrev_b16_e32 v1, 13, v36
	v_add_u16_e32 v1, v36, v1
	v_and_b32_e32 v1, -8, v1
	v_sub_u16_e32 v38, v36, v1
	v_lshrrev_b32_e32 v1, 2, v0
	v_and_b32_e32 v1, 16, v1
	v_add_u32_e32 v39, v4, v1
	v_mov_b32_e32 v40, 12
	v_lshrrev_b32_e32 v37, 3, v2
	v_lshrrev_b16_sdwa v2, v40, sext(v39) dst_sel:DWORD dst_unused:UNUSED_PAD src0_sel:DWORD src1_sel:BYTE_0
	v_and_b32_e32 v2, 7, v2
	v_add_u16_e32 v2, v39, v2
	s_ashr_i32 s3, s14, 31
	v_and_b32_e32 v2, 0xf8, v2
	s_lshr_b32 s3, s3, 29
	v_sub_u16_e32 v51, v39, v2
	s_add_i32 s14, s14, s3
	s_mul_i32 s2, s2, s11
	v_xor_b32_sdwa v50, v37, sext(v38) dst_sel:DWORD dst_unused:UNUSED_PAD src0_sel:DWORD src1_sel:WORD_0
	v_xor_b32_sdwa v61, v37, sext(v51) dst_sel:DWORD dst_unused:UNUSED_PAD src0_sel:DWORD src1_sel:BYTE_0
	s_ashr_i32 s9, s14, 3
	; sched_barrier mask(0x00000000)
	s_add_i32 s2, s7, s2
	s_lshl_b32 s2, s2, 1
	s_mov_b32 s3, 0x20000
	v_lshlrev_b32_e32 v10, 1, v3
	v_add_u32_e32 v11, s11, v3
	v_lshlrev_b32_e32 v12, 1, v11
	buffer_load_dwordx4 v[2:5], v10, s[0:3], 0 offen
	buffer_load_dwordx4 v[6:9], v12, s[0:3], 0 offen
	v_add_u32_e32 v10, s11, v11
	v_add_u32_e32 v41, s11, v10
	s_add_i32 s7, s7, s8
	v_lshlrev_b32_e32 v19, 1, v10
	v_lshlrev_b32_e32 v20, 1, v41
	s_lshl_b32 s6, s7, 1
	s_mov_b32 s7, s3
	v_lshlrev_b32_e32 v26, 1, v18
	v_add_u32_e32 v27, s13, v18
	buffer_load_dwordx4 v[10:13], v19, s[0:3], 0 offen
	buffer_load_dwordx4 v[14:17], v20, s[0:3], 0 offen
	v_lshlrev_b32_e32 v28, 1, v27
	buffer_load_dwordx4 v[18:21], v26, s[4:7], 0 offen
	buffer_load_dwordx4 v[22:25], v28, s[4:7], 0 offen
	v_add_u32_e32 v26, s13, v27
	v_lshlrev_b32_e32 v27, 1, v26
	v_add_u32_e32 v42, s13, v26
	buffer_load_dwordx4 v[26:29], v27, s[4:7], 0 offen
	v_lshlrev_b32_e32 v30, 1, v42
	buffer_load_dwordx4 v[30:33], v30, s[4:7], 0 offen
	v_or_b32_e32 v44, 1, v34
	v_or_b32_e32 v45, 2, v34
	v_or_b32_e32 v34, 3, v34
	v_xor_b32_e32 v44, v44, v54
	s_mul_i32 s8, s11, -3
	s_mul_i32 s10, s13, -3
	v_lshlrev_b32_e32 v43, 1, v35
	v_xor_b32_e32 v62, v45, v54
	v_xor_b32_e32 v34, v34, v54
	v_sub_u32_e32 v46, v44, v58
	v_or_b32_e32 v45, 0x4000, v43
	v_sub_u32_e32 v44, v62, v44
	v_sub_u32_e32 v47, v34, v62
	;; [unrolled: 1-line block ×3, first 2 shown]
	v_add3_u32 v34, s8, 64, v41
	v_add3_u32 v41, s10, 64, v42
	v_lshlrev_b32_e32 v42, 4, v46
	v_lshlrev_b32_e32 v162, 3, v46
	;; [unrolled: 1-line block ×3, first 2 shown]
	v_add_u32_e32 v48, v43, v42
	v_add_u32_e32 v42, v45, v42
	v_lshlrev_b32_e32 v45, 1, v34
	v_add_u32_e32 v34, s11, v34
	v_add_u32_e32 v164, 64, v163
	v_add_u32_e32 v165, 64, v162
	v_lshlrev_b32_e32 v49, 1, v41
	v_add_u32_e32 v41, s13, v41
	v_lshlrev_b32_e32 v53, 1, v34
	v_add_u32_e32 v34, s11, v34
	v_add3_u32 v35, v165, v35, v164
	v_lshlrev_b32_e32 v64, 1, v41
	v_add_u32_e32 v41, s13, v41
	buffer_load_dwordx4 v[122:125], v45, s[0:3], 0 offen
	buffer_load_dwordx4 v[90:93], v53, s[0:3], 0 offen
	v_lshlrev_b32_e32 v45, 1, v34
	v_lshlrev_b32_e32 v46, 4, v47
	v_lshl_add_u32 v65, v47, 3, v35
	v_add_lshl_u32 v34, v34, s11, 1
	buffer_load_dwordx4 v[98:101], v49, s[4:7], 0 offen
	buffer_load_dwordx4 v[94:97], v64, s[4:7], 0 offen
	v_lshlrev_b32_e32 v47, 1, v41
	v_add_lshl_u32 v41, v41, s13, 1
	buffer_load_dwordx4 v[102:105], v45, s[0:3], 0 offen
	buffer_load_dwordx4 v[106:109], v34, s[0:3], 0 offen
	;; [unrolled: 1-line block ×4, first 2 shown]
	v_lshlrev_b32_e32 v44, 4, v44
	v_add3_u32 v52, v48, s12, v44
	v_add3_u32 v44, v42, s12, v44
	;; [unrolled: 1-line block ×3, first 2 shown]
	s_movk_i32 s8, 0xff80
	s_waitcnt vmcnt(15)
	ds_write_b128 v43, v[2:5]
	s_waitcnt vmcnt(14)
	ds_write_b128 v48, v[6:9] offset:128
	s_waitcnt vmcnt(13)
	ds_write_b128 v52, v[10:13] offset:128
	;; [unrolled: 2-line block ×6, first 2 shown]
	v_add_u16_e32 v3, 32, v36
	v_ashrrev_i16_e32 v4, 15, v3
	v_lshrrev_b16_e32 v4, 13, v4
	v_add_u16_e32 v4, v3, v4
	v_and_b32_e32 v4, -8, v4
	v_add_u16_e32 v7, 32, v39
	v_sub_u16_e32 v3, v3, v4
	v_lshrrev_b16_sdwa v8, v40, sext(v7) dst_sel:DWORD dst_unused:UNUSED_PAD src0_sel:DWORD src1_sel:BYTE_0
	v_add3_u32 v2, v44, s12, v46
	v_xor_b32_sdwa v4, v37, sext(v3) dst_sel:DWORD dst_unused:UNUSED_PAD src0_sel:DWORD src1_sel:WORD_0
	v_and_b32_e32 v8, 7, v8
	s_waitcnt vmcnt(8)
	ds_write_b128 v2, v[30:33] offset:128
	v_lshlrev_b32_e32 v2, 7, v36
	v_sub_u32_e32 v4, v4, v50
	v_add_u16_e32 v8, v7, v8
	v_lshl_add_u32 v166, v50, 4, v2
	v_lshlrev_b32_e32 v4, 4, v4
	v_and_b32_e32 v8, 0xf8, v8
	v_add_u32_e32 v167, v166, v4
	v_xor_b32_e32 v4, v37, v54
	v_sub_u16_e32 v7, v7, v8
	v_sub_u32_e32 v5, v4, v50
	v_lshlrev_b32_e32 v6, 7, v39
	v_xor_b32_sdwa v8, v37, sext(v7) dst_sel:DWORD dst_unused:UNUSED_PAD src0_sel:DWORD src1_sel:BYTE_0
	v_lshl_add_u32 v168, v5, 4, v166
	v_lshl_add_u32 v5, v61, 4, v6
	v_sub_u32_e32 v8, v8, v61
	v_add_u32_e32 v169, 0x4000, v5
	v_lshlrev_b32_e32 v8, 4, v8
	v_add_u32_e32 v170, v169, v8
	v_sub_u32_e32 v4, v4, v61
	v_or_b32_e32 v8, 1, v37
	v_lshl_add_u32 v171, v4, 4, v169
	v_xor_b32_sdwa v4, v8, sext(v38) dst_sel:DWORD dst_unused:UNUSED_PAD src0_sel:DWORD src1_sel:WORD_0
	v_lshl_add_u32 v172, v4, 4, v2
	v_xor_b32_sdwa v2, v8, sext(v3) dst_sel:DWORD dst_unused:UNUSED_PAD src0_sel:DWORD src1_sel:WORD_0
	v_sub_u32_e32 v2, v2, v50
	v_xor_b32_sdwa v9, v8, sext(v51) dst_sel:DWORD dst_unused:UNUSED_PAD src0_sel:DWORD src1_sel:BYTE_0
	v_lshlrev_b32_e32 v2, 4, v2
	v_xor_b32_e32 v10, v8, v54
	v_lshl_add_u32 v175, v9, 4, v6
	v_xor_b32_sdwa v6, v8, sext(v7) dst_sel:DWORD dst_unused:UNUSED_PAD src0_sel:DWORD src1_sel:BYTE_0
	v_add_u32_e32 v173, v166, v2
	v_sub_u32_e32 v2, v10, v50
	v_sub_u32_e32 v6, v6, v61
	v_lshl_add_u32 v174, v2, 4, v166
	v_lshlrev_b32_e32 v6, 4, v6
	v_sub_u32_e32 v10, v10, v61
	s_waitcnt lgkmcnt(0)
	s_barrier
	ds_read_b128 v[82:85], v166
	ds_read_b128 v[46:49], v168 offset:8192
	ds_read_b128 v[30:33], v5 offset:16384
	;; [unrolled: 1-line block ×6, first 2 shown]
	ds_read_b128 v[66:69], v172
	ds_read_b128 v[34:37], v174 offset:8192
	ds_read_b128 v[2:5], v174 offset:12288
	v_add_u32_e32 v176, v169, v6
	ds_read_b128 v[50:53], v173 offset:4096
	ds_read_b128 v[6:9], v176 offset:4096
	v_lshl_add_u32 v177, v10, 4, v169
	ds_read_b128 v[10:13], v175 offset:16384
	ds_read_b128 v[26:29], v177 offset:8192
	;; [unrolled: 1-line block ×4, first 2 shown]
	v_lshlrev_b32_e32 v61, 3, v63
	v_add3_u32 v178, v65, v61, s8
	s_movk_i32 s8, 0x4000
	; sched_barrier mask(0x00000000)
	v_or_b32_e32 v55, 3, v55
	v_xor_b32_e32 v55, v55, v0
	v_and_b32_e32 v55, 7, v55
	v_sub_u32_e32 v61, v55, v62
	v_sub_u32_e32 v55, v58, v55
	v_mov_b32_e32 v58, 0xffffff40
	v_lshlrev_b32_e32 v182, 4, v54
	v_add_u32_e32 v54, 3, v59
	v_lshl_add_u32 v181, v55, 3, v58
	v_mul_lo_u32 v54, s13, v54
	v_mov_b32_e32 v55, 0x100
	v_lshl_add_u32 v183, v54, 1, v55
	v_add_u32_e32 v54, 2, v59
	v_mul_lo_u32 v54, s13, v54
	v_lshl_add_u32 v184, v54, 1, v55
	v_add_u32_e32 v54, s13, v60
	v_lshl_add_u32 v185, v54, 1, v55
	v_add_u32_e32 v54, 3, v56
	v_mul_lo_u32 v54, s11, v54
	v_lshl_add_u32 v187, v54, 1, v55
	v_add_u32_e32 v54, 2, v56
	v_mul_lo_u32 v54, s11, v54
	v_lshl_add_u32 v188, v54, 1, v55
	v_add_u32_e32 v54, s11, v57
	s_add_i32 s9, s9, -1
	v_lshlrev_b32_e32 v179, 3, v61
	v_lshl_add_u32 v189, v54, 1, v55
	v_mov_b32_e32 v54, 0
	s_max_i32 s9, s9, 1
	v_add_u32_e32 v180, 64, v179
	v_lshl_add_u32 v186, v60, 1, v55
	v_lshl_add_u32 v190, v57, 1, v55
	v_mov_b32_e32 v191, v178
	v_mov_b32_e32 v55, v54
	;; [unrolled: 1-line block ×64, first 2 shown]
.LBB1_9:                                ; =>This Inner Loop Header: Depth=1
	v_lshlrev_b32_e32 v192, 1, v191
	s_waitcnt lgkmcnt(0)
	s_barrier
	s_waitcnt vmcnt(7)
	ds_write_b128 v192, v[122:125]
	v_add_u32_e32 v122, v182, v190
	v_mfma_f32_16x16x16bf16_1k v[158:161], v[82:83], v[30:31], v[158:161]
	buffer_load_dwordx4 v[122:125], v122, s[0:3], 0 offen
	v_lshlrev_b32_e32 v196, 1, v162
	v_add_u32_e32 v192, v192, v196
	v_add3_u32 v191, v191, v165, v164
	v_add3_u32 v191, v191, v180, v181
	; sched_group_barrier mask(0x00000200) size(1) SyncID(0)
	; sched_group_barrier mask(0x00000008) size(1) SyncID(0)
	;; [unrolled: 1-line block ×3, first 2 shown]
	v_mfma_f32_16x16x16bf16_1k v[150:153], v[82:83], v[22:23], v[150:153]
	v_mfma_f32_16x16x16bf16_1k v[154:157], v[82:83], v[42:43], v[154:157]
	;; [unrolled: 1-line block ×5, first 2 shown]
	s_waitcnt vmcnt(7)
	ds_write_b128 v192, v[90:93] offset:128
	; sched_group_barrier mask(0x00000008) size(5) SyncID(0)
	; sched_group_barrier mask(0x00000200) size(1) SyncID(0)
	v_mfma_f32_16x16x16bf16_1k v[146:149], v[82:83], v[38:39], v[146:149]
	v_add_u32_e32 v82, v182, v189
	buffer_load_dwordx4 v[90:93], v82, s[0:3], 0 offen
	; sched_group_barrier mask(0x00000008) size(1) SyncID(0)
	; sched_group_barrier mask(0x00000020) size(1) SyncID(0)
	v_mfma_f32_16x16x16bf16_1k v[142:145], v[70:71], v[30:31], v[142:145]
	v_mfma_f32_16x16x16bf16_1k v[138:141], v[70:71], v[22:23], v[138:141]
	;; [unrolled: 1-line block ×3, first 2 shown]
	s_nop 6
	v_lshlrev_b32_e32 v146, 1, v163
	v_add3_u32 v147, v192, s12, v146
	v_mfma_f32_16x16x16bf16_1k v[142:145], v[72:73], v[32:33], v[142:145]
	v_mfma_f32_16x16x16bf16_1k v[138:141], v[72:73], v[24:25], v[138:141]
	s_waitcnt vmcnt(5)
	ds_write_b128 v147, v[102:105] offset:128
	v_add_u32_e32 v102, v182, v188
	; sched_group_barrier mask(0x00000008) size(5) SyncID(0)
	; sched_group_barrier mask(0x00000200) size(1) SyncID(0)
	v_mfma_f32_16x16x16bf16_1k v[134:137], v[70:71], v[42:43], v[134:137]
	buffer_load_dwordx4 v[102:105], v102, s[0:3], 0 offen
	; sched_group_barrier mask(0x00000008) size(1) SyncID(0)
	; sched_group_barrier mask(0x00000020) size(1) SyncID(0)
	v_mfma_f32_16x16x16bf16_1k v[130:133], v[70:71], v[38:39], v[130:133]
	v_mfma_f32_16x16x16bf16_1k v[126:129], v[46:47], v[30:31], v[126:129]
	;; [unrolled: 1-line block ×4, first 2 shown]
	s_nop 7
	v_lshlrev_b32_e32 v130, 1, v179
	v_add3_u32 v131, v147, s12, v130
	v_mfma_f32_16x16x16bf16_1k v[126:129], v[48:49], v[32:33], v[126:129]
	s_waitcnt vmcnt(5)
	ds_write_b128 v131, v[106:109] offset:128
	v_add_u32_e32 v106, v182, v187
	v_lshlrev_b32_e32 v131, 1, v178
	v_add3_u32 v178, v178, v165, v164
	v_add3_u32 v178, v178, v180, v181
	; sched_group_barrier mask(0x00000008) size(5) SyncID(0)
	; sched_group_barrier mask(0x00000200) size(1) SyncID(0)
	v_mfma_f32_16x16x16bf16_1k v[118:121], v[46:47], v[22:23], v[118:121]
	buffer_load_dwordx4 v[106:109], v106, s[0:3], 0 offen
	; sched_group_barrier mask(0x00000008) size(1) SyncID(0)
	; sched_group_barrier mask(0x00000020) size(1) SyncID(0)
	v_mfma_f32_16x16x16bf16_1k v[86:89], v[46:47], v[42:43], v[86:89]
	v_mfma_f32_16x16x16bf16_1k v[78:81], v[46:47], v[38:39], v[78:81]
	;; [unrolled: 1-line block ×5, first 2 shown]
	ds_write_b128 v131, v[98:101] offset:16384
	; sched_group_barrier mask(0x00000008) size(5) SyncID(0)
	; sched_group_barrier mask(0x00000200) size(1) SyncID(0)
	v_mfma_f32_16x16x16bf16_1k v[46:49], v[14:15], v[30:31], v[62:65]
	v_add_u32_e32 v30, v182, v186
	buffer_load_dwordx4 v[98:101], v30, s[4:7], 0 offen
	; sched_group_barrier mask(0x00000008) size(1) SyncID(0)
	; sched_group_barrier mask(0x00000020) size(1) SyncID(0)
	v_mfma_f32_16x16x16bf16_1k v[58:61], v[14:15], v[22:23], v[58:61]
	v_mfma_f32_16x16x16bf16_1k v[62:65], v[14:15], v[42:43], v[74:77]
	;; [unrolled: 1-line block ×3, first 2 shown]
	s_nop 6
	v_add3_u32 v46, v131, s8, v196
	v_mfma_f32_16x16x16bf16_1k v[58:61], v[16:17], v[24:25], v[58:61]
	v_mfma_f32_16x16x16bf16_1k v[192:195], v[16:17], v[44:45], v[62:65]
	ds_write_b128 v46, v[94:97] offset:128
	; sched_group_barrier mask(0x00000008) size(5) SyncID(0)
	; sched_group_barrier mask(0x00000200) size(1) SyncID(0)
	v_mfma_f32_16x16x16bf16_1k v[22:25], v[14:15], v[38:39], v[54:57]
	v_add_u32_e32 v14, v182, v185
	buffer_load_dwordx4 v[94:97], v14, s[4:7], 0 offen
	v_add3_u32 v38, v46, s12, v146
	; sched_group_barrier mask(0x00000008) size(1) SyncID(0)
	; sched_group_barrier mask(0x00000020) size(1) SyncID(0)
	v_mfma_f32_16x16x16bf16_1k v[30:33], v[66:67], v[10:11], v[158:161]
	v_mfma_f32_16x16x16bf16_1k v[42:45], v[66:67], v[6:7], v[150:153]
	;; [unrolled: 1-line block ×3, first 2 shown]
	s_nop 6
	v_add_u32_e32 v22, v182, v184
	v_mfma_f32_16x16x16bf16_1k v[158:161], v[68:69], v[12:13], v[30:33]
	v_mfma_f32_16x16x16bf16_1k v[150:153], v[68:69], v[8:9], v[42:45]
	s_waitcnt vmcnt(7)
	ds_write_b128 v38, v[114:117] offset:128
	; sched_group_barrier mask(0x00000008) size(5) SyncID(0)
	; sched_group_barrier mask(0x00000200) size(1) SyncID(0)
	v_mfma_f32_16x16x16bf16_1k v[14:17], v[66:67], v[26:27], v[154:157]
	buffer_load_dwordx4 v[114:117], v22, s[4:7], 0 offen
	; sched_group_barrier mask(0x00000008) size(1) SyncID(0)
	; sched_group_barrier mask(0x00000020) size(1) SyncID(0)
	v_mfma_f32_16x16x16bf16_1k v[22:25], v[66:67], v[18:19], v[82:85]
	v_mfma_f32_16x16x16bf16_1k v[30:33], v[50:51], v[10:11], v[142:145]
	;; [unrolled: 1-line block ×4, first 2 shown]
	s_nop 5
	v_add3_u32 v14, v38, s12, v130
	s_nop 0
	v_add_u32_e32 v22, v182, v183
	v_mfma_f32_16x16x16bf16_1k v[142:145], v[52:53], v[12:13], v[30:33]
	s_waitcnt vmcnt(7)
	ds_write_b128 v14, v[110:113] offset:128
	; sched_group_barrier mask(0x00000008) size(5) SyncID(0)
	; sched_group_barrier mask(0x00000200) size(1) SyncID(0)
	v_mfma_f32_16x16x16bf16_1k v[14:17], v[50:51], v[6:7], v[138:141]
	buffer_load_dwordx4 v[110:113], v22, s[4:7], 0 offen
	s_waitcnt lgkmcnt(0)
	s_barrier
	; sched_group_barrier mask(0x00000008) size(1) SyncID(0)
	; sched_group_barrier mask(0x00000020) size(1) SyncID(0)
	v_mfma_f32_16x16x16bf16_1k v[22:25], v[50:51], v[26:27], v[134:137]
	v_mfma_f32_16x16x16bf16_1k v[30:33], v[50:51], v[18:19], v[70:73]
	;; [unrolled: 1-line block ×5, first 2 shown]
	ds_read_b128 v[82:85], v166
	; sched_group_barrier mask(0x00000008) size(5) SyncID(0)
	; sched_group_barrier mask(0x00000100) size(1) SyncID(0)
	v_mfma_f32_16x16x16bf16_1k v[14:17], v[34:35], v[10:11], v[126:129]
	s_nop 1
	ds_read_b128 v[70:73], v167 offset:4096
	; sched_group_barrier mask(0x00000008) size(1) SyncID(0)
	; sched_group_barrier mask(0x00000100) size(1) SyncID(0)
	v_mfma_f32_16x16x16bf16_1k v[126:129], v[36:37], v[12:13], v[14:17]
	ds_read_b128 v[46:49], v168 offset:8192
	; sched_group_barrier mask(0x00000008) size(1) SyncID(0)
	; sched_group_barrier mask(0x00000100) size(1) SyncID(0)
	v_mfma_f32_16x16x16bf16_1k v[22:25], v[34:35], v[6:7], v[118:121]
	s_nop 4
	ds_read_b128 v[14:17], v168 offset:12288
	; sched_group_barrier mask(0x00000008) size(1) SyncID(0)
	; sched_group_barrier mask(0x00000100) size(1) SyncID(0)
	v_mfma_f32_16x16x16bf16_1k v[118:121], v[36:37], v[8:9], v[22:25]
	ds_read_b128 v[30:33], v169
	; sched_group_barrier mask(0x00000008) size(1) SyncID(0)
	; sched_group_barrier mask(0x00000100) size(1) SyncID(0)
	v_mfma_f32_16x16x16bf16_1k v[38:41], v[34:35], v[26:27], v[86:89]
	s_nop 4
	ds_read_b128 v[22:25], v170 offset:4096
	; sched_group_barrier mask(0x00000008) size(1) SyncID(0)
	; sched_group_barrier mask(0x00000100) size(1) SyncID(0)
	v_mfma_f32_16x16x16bf16_1k v[86:89], v[36:37], v[28:29], v[38:41]
	ds_read_b128 v[42:45], v171 offset:8192
	; sched_group_barrier mask(0x00000008) size(1) SyncID(0)
	; sched_group_barrier mask(0x00000100) size(1) SyncID(0)
	v_mfma_f32_16x16x16bf16_1k v[50:53], v[34:35], v[18:19], v[78:81]
	s_nop 4
	ds_read_b128 v[38:41], v171 offset:12288
	; sched_group_barrier mask(0x00000008) size(1) SyncID(0)
	; sched_group_barrier mask(0x00000100) size(1) SyncID(0)
	v_mfma_f32_16x16x16bf16_1k v[78:81], v[36:37], v[20:21], v[50:53]
	ds_read_b128 v[66:69], v172
	; sched_group_barrier mask(0x00000008) size(1) SyncID(0)
	; sched_group_barrier mask(0x00000100) size(1) SyncID(0)
	v_mfma_f32_16x16x16bf16_1k v[34:37], v[2:3], v[10:11], v[74:77]
	s_nop 4
	ds_read_b128 v[50:53], v173 offset:4096
	; sched_group_barrier mask(0x00000008) size(1) SyncID(0)
	; sched_group_barrier mask(0x00000100) size(1) SyncID(0)
	v_mfma_f32_16x16x16bf16_1k v[62:65], v[4:5], v[12:13], v[34:37]
	; sched_group_barrier mask(0x00000008) size(1) SyncID(0)
	s_nop 6
	ds_read_b128 v[34:37], v174 offset:8192
	v_mfma_f32_16x16x16bf16_1k v[58:61], v[2:3], v[6:7], v[58:61]
	ds_read_b128 v[10:13], v175 offset:16384
	; sched_group_barrier mask(0x00000100) size(1) SyncID(0)
	; sched_group_barrier mask(0x00000008) size(1) SyncID(0)
	;; [unrolled: 1-line block ×3, first 2 shown]
	v_mfma_f32_16x16x16bf16_1k v[58:61], v[4:5], v[8:9], v[58:61]
	ds_read_b128 v[6:9], v176 offset:4096
	; sched_group_barrier mask(0x00000008) size(1) SyncID(0)
	; sched_group_barrier mask(0x00000100) size(1) SyncID(0)
	v_mfma_f32_16x16x16bf16_1k v[74:77], v[2:3], v[26:27], v[192:195]
	; sched_group_barrier mask(0x00000008) size(1) SyncID(0)
	v_mfma_f32_16x16x16bf16_1k v[54:57], v[2:3], v[18:19], v[54:57]
	v_mfma_f32_16x16x16bf16_1k v[54:57], v[4:5], v[20:21], v[54:57]
	;; [unrolled: 1-line block ×3, first 2 shown]
	ds_read_b128 v[2:5], v174 offset:12288
	ds_read_b128 v[26:29], v177 offset:8192
	;; [unrolled: 1-line block ×3, first 2 shown]
	; sched_group_barrier mask(0x00000100) size(1) SyncID(0)
	; sched_group_barrier mask(0x00000008) size(1) SyncID(0)
	;; [unrolled: 1-line block ×6, first 2 shown]
	; sched_barrier mask(0x00000000)
	s_add_i32 s9, s9, -1
	v_add_u32_e32 v183, 0x80, v183
	v_add_u32_e32 v184, 0x80, v184
	;; [unrolled: 1-line block ×7, first 2 shown]
	s_cmp_lg_u32 s9, 0
	v_add_u32_e32 v190, 0x80, v190
	s_cbranch_scc1 .LBB1_9
; %bb.10:
	s_waitcnt vmcnt(6) lgkmcnt(11)
	v_mfma_f32_16x16x16bf16_1k v[90:93], v[82:83], v[30:31], v[158:161]
	s_movk_i32 s0, 0x7fff
	s_waitcnt vmcnt(4)
	v_mov_b32_e32 v106, 0x7fc0
	s_waitcnt lgkmcnt(0)
	s_barrier
	v_mfma_f32_16x16x16bf16_1k v[90:93], v[84:85], v[32:33], v[90:93]
	s_waitcnt vmcnt(2)
	v_mfma_f32_16x16x16bf16_1k v[94:97], v[82:83], v[22:23], v[150:153]
	v_mfma_f32_16x16x16bf16_1k v[90:93], v[66:67], v[10:11], v[90:93]
	;; [unrolled: 1-line block ×5, first 2 shown]
	s_nop 7
	s_nop 1
	v_cmp_o_f32_e32 vcc, v90, v90
	v_mfma_f32_16x16x16bf16_1k v[98:101], v[82:83], v[42:43], v[154:157]
	v_mfma_f32_16x16x16bf16_1k v[102:105], v[82:83], v[38:39], v[146:149]
	v_lshlrev_b32_e32 v82, 3, v0
	v_lshl_or_b32 v0, v0, 4, v0
	v_and_b32_e32 v82, 0x400, v82
	v_and_b32_e32 v0, 0x30f, v0
	v_or3_b32 v0, v0, v82, v1
	v_bfe_u32 v1, v90, 16, 1
	v_add3_u32 v1, v90, v1, s0
	v_lshlrev_b32_e32 v107, 1, v0
	v_bfe_u32 v0, v91, 16, 1
	v_lshrrev_b32_e32 v1, 16, v1
	v_add3_u32 v0, v91, v0, s0
	v_cndmask_b32_e32 v1, v106, v1, vcc
	v_lshrrev_b32_e32 v0, 16, v0
	v_cmp_o_f32_e32 vcc, v91, v91
	v_cndmask_b32_e32 v0, v106, v0, vcc
	ds_write_b16 v107, v0 offset:128
	v_bfe_u32 v0, v92, 16, 1
	v_mfma_f32_16x16x16bf16_1k v[94:97], v[68:69], v[8:9], v[94:97]
	v_add3_u32 v0, v92, v0, s0
	v_lshrrev_b32_e32 v0, 16, v0
	v_cmp_o_f32_e32 vcc, v92, v92
	v_cndmask_b32_e32 v0, v106, v0, vcc
	ds_write_b16 v107, v0 offset:256
	v_bfe_u32 v0, v93, 16, 1
	v_add3_u32 v0, v93, v0, s0
	v_mfma_f32_16x16x16bf16_1k v[98:101], v[84:85], v[44:45], v[98:101]
	v_lshrrev_b32_e32 v0, 16, v0
	v_cmp_o_f32_e32 vcc, v93, v93
	v_cndmask_b32_e32 v0, v106, v0, vcc
	ds_write_b16 v107, v0 offset:384
	v_bfe_u32 v0, v97, 16, 1
	v_add3_u32 v0, v97, v0, s0
	v_lshrrev_b32_e32 v0, 16, v0
	v_cmp_o_f32_e32 vcc, v97, v97
	v_cndmask_b32_e32 v0, v106, v0, vcc
	ds_write_b16 v107, v0 offset:448
	v_bfe_u32 v0, v96, 16, 1
	v_add3_u32 v0, v96, v0, s0
	v_cmp_o_f32_e32 vcc, v96, v96
	v_mfma_f32_16x16x16bf16_1k v[96:99], v[66:67], v[26:27], v[98:101]
	v_lshrrev_b32_e32 v0, 16, v0
	v_cndmask_b32_e32 v0, v106, v0, vcc
	ds_write_b16 v107, v0 offset:320
	v_bfe_u32 v0, v95, 16, 1
	v_add3_u32 v0, v95, v0, s0
	v_lshrrev_b32_e32 v0, 16, v0
	v_cmp_o_f32_e32 vcc, v95, v95
	v_cndmask_b32_e32 v0, v106, v0, vcc
	ds_write_b16 v107, v0 offset:192
	v_bfe_u32 v0, v94, 16, 1
	v_mfma_f32_16x16x16bf16_1k v[82:85], v[84:85], v[40:41], v[102:105]
	v_add3_u32 v0, v94, v0, s0
	v_cmp_o_f32_e32 vcc, v94, v94
	v_lshrrev_b32_e32 v0, 16, v0
	v_cndmask_b32_e32 v0, v106, v0, vcc
	ds_write_b16 v107, v0 offset:64
	ds_write_b16 v107, v1
	s_waitcnt lgkmcnt(0)
	v_mfma_f32_16x16x16bf16_1k v[94:97], v[68:69], v[28:29], v[96:99]
	s_barrier
	s_waitcnt lgkmcnt(0)
	s_barrier
	v_mfma_f32_16x16x16bf16_1k v[82:85], v[66:67], v[18:19], v[82:85]
	s_nop 6
	v_bfe_u32 v0, v94, 16, 1
	v_add3_u32 v0, v94, v0, s0
	v_lshrrev_b32_e32 v0, 16, v0
	v_cmp_o_f32_e32 vcc, v94, v94
	v_cndmask_b32_e32 v0, v106, v0, vcc
	ds_write_b16 v107, v0
	v_bfe_u32 v0, v95, 16, 1
	v_mfma_f32_16x16x16bf16_1k v[98:101], v[70:71], v[42:43], v[134:137]
	v_add3_u32 v0, v95, v0, s0
	v_lshrrev_b32_e32 v0, 16, v0
	v_cmp_o_f32_e32 vcc, v95, v95
	v_cndmask_b32_e32 v0, v106, v0, vcc
	ds_write_b16 v107, v0 offset:128
	v_bfe_u32 v0, v96, 16, 1
	v_add3_u32 v0, v96, v0, s0
	v_mfma_f32_16x16x16bf16_1k v[66:69], v[68:69], v[20:21], v[82:85]
	v_lshrrev_b32_e32 v0, 16, v0
	v_cmp_o_f32_e32 vcc, v96, v96
	v_cndmask_b32_e32 v0, v106, v0, vcc
	ds_write_b16 v107, v0 offset:256
	v_bfe_u32 v0, v97, 16, 1
	v_add3_u32 v0, v97, v0, s0
	v_lshrrev_b32_e32 v0, 16, v0
	v_mfma_f32_16x16x16bf16_1k v[102:105], v[70:71], v[30:31], v[142:145]
	v_cmp_o_f32_e32 vcc, v97, v97
	v_cndmask_b32_e32 v0, v106, v0, vcc
	ds_write_b16 v107, v0 offset:384
	v_bfe_u32 v0, v69, 16, 1
	v_add3_u32 v0, v69, v0, s0
	v_lshrrev_b32_e32 v0, 16, v0
	v_cmp_o_f32_e32 vcc, v69, v69
	v_mfma_f32_16x16x16bf16_1k v[82:85], v[72:73], v[44:45], v[98:101]
	v_cndmask_b32_e32 v0, v106, v0, vcc
	ds_write_b16 v107, v0 offset:448
	v_bfe_u32 v0, v68, 16, 1
	v_add3_u32 v0, v68, v0, s0
	v_cmp_o_f32_e32 vcc, v68, v68
	v_lshrrev_b32_e32 v0, 16, v0
	v_cndmask_b32_e32 v0, v106, v0, vcc
	v_mfma_f32_16x16x16bf16_1k v[90:93], v[72:73], v[32:33], v[102:105]
	ds_write_b16 v107, v0 offset:320
	v_bfe_u32 v0, v67, 16, 1
	v_add3_u32 v0, v67, v0, s0
	v_lshrrev_b32_e32 v0, 16, v0
	v_cmp_o_f32_e32 vcc, v67, v67
	v_cndmask_b32_e32 v0, v106, v0, vcc
	ds_write_b16 v107, v0 offset:192
	v_mfma_f32_16x16x16bf16_1k v[102:105], v[70:71], v[22:23], v[138:141]
	v_bfe_u32 v0, v66, 16, 1
	v_add3_u32 v0, v66, v0, s0
	v_cmp_o_f32_e32 vcc, v66, v66
	v_lshrrev_b32_e32 v0, 16, v0
	v_cndmask_b32_e32 v0, v106, v0, vcc
	ds_write_b16 v107, v0 offset:64
	s_waitcnt lgkmcnt(0)
	v_mfma_f32_16x16x16bf16_1k v[94:97], v[70:71], v[38:39], v[130:133]
	s_barrier
	s_waitcnt lgkmcnt(0)
	s_barrier
	v_mfma_f32_16x16x16bf16_1k v[68:71], v[50:51], v[26:27], v[82:85]
	v_mfma_f32_16x16x16bf16_1k v[66:69], v[52:53], v[28:29], v[68:71]
	;; [unrolled: 1-line block ×3, first 2 shown]
	s_nop 7
	s_nop 1
	v_bfe_u32 v0, v66, 16, 1
	v_add3_u32 v0, v66, v0, s0
	v_lshrrev_b32_e32 v0, 16, v0
	v_cmp_o_f32_e32 vcc, v66, v66
	v_cndmask_b32_e32 v0, v106, v0, vcc
	ds_write_b16 v107, v0
	v_bfe_u32 v0, v67, 16, 1
	v_mfma_f32_16x16x16bf16_1k v[82:85], v[50:51], v[18:19], v[82:85]
	v_add3_u32 v0, v67, v0, s0
	v_lshrrev_b32_e32 v0, 16, v0
	v_cmp_o_f32_e32 vcc, v67, v67
	v_cndmask_b32_e32 v0, v106, v0, vcc
	ds_write_b16 v107, v0 offset:128
	v_bfe_u32 v0, v68, 16, 1
	v_add3_u32 v0, v68, v0, s0
	v_mfma_f32_16x16x16bf16_1k v[82:85], v[52:53], v[20:21], v[82:85]
	v_lshrrev_b32_e32 v0, 16, v0
	v_cmp_o_f32_e32 vcc, v68, v68
	v_cndmask_b32_e32 v0, v106, v0, vcc
	ds_write_b16 v107, v0 offset:256
	v_bfe_u32 v0, v69, 16, 1
	v_add3_u32 v0, v69, v0, s0
	v_lshrrev_b32_e32 v0, 16, v0
	v_cmp_o_f32_e32 vcc, v69, v69
	v_cndmask_b32_e32 v0, v106, v0, vcc
	ds_write_b16 v107, v0 offset:384
	s_nop 0
	v_bfe_u32 v0, v85, 16, 1
	v_add3_u32 v0, v85, v0, s0
	v_lshrrev_b32_e32 v0, 16, v0
	v_cmp_o_f32_e32 vcc, v85, v85
	v_cndmask_b32_e32 v0, v106, v0, vcc
	ds_write_b16 v107, v0 offset:448
	v_bfe_u32 v0, v84, 16, 1
	v_add3_u32 v0, v84, v0, s0
	v_mfma_f32_16x16x16bf16_1k v[90:93], v[50:51], v[10:11], v[90:93]
	v_lshrrev_b32_e32 v0, 16, v0
	v_cmp_o_f32_e32 vcc, v84, v84
	v_cndmask_b32_e32 v0, v106, v0, vcc
	ds_write_b16 v107, v0 offset:320
	v_bfe_u32 v0, v83, 16, 1
	v_add3_u32 v0, v83, v0, s0
	v_lshrrev_b32_e32 v0, 16, v0
	v_cmp_o_f32_e32 vcc, v83, v83
	v_cndmask_b32_e32 v0, v106, v0, vcc
	ds_write_b16 v107, v0 offset:192
	v_bfe_u32 v0, v82, 16, 1
	v_mfma_f32_16x16x16bf16_1k v[66:69], v[72:73], v[24:25], v[102:105]
	v_add3_u32 v0, v82, v0, s0
	v_cmp_o_f32_e32 vcc, v82, v82
	v_lshrrev_b32_e32 v0, 16, v0
	v_cndmask_b32_e32 v0, v106, v0, vcc
	ds_write_b16 v107, v0 offset:64
	s_waitcnt lgkmcnt(0)
	s_barrier
	v_mfma_f32_16x16x16bf16_1k v[82:85], v[52:53], v[12:13], v[90:93]
	s_waitcnt lgkmcnt(0)
	s_barrier
	v_mfma_f32_16x16x16bf16_1k v[66:69], v[50:51], v[6:7], v[66:69]
	s_nop 7
	v_bfe_u32 v0, v82, 16, 1
	v_add3_u32 v0, v82, v0, s0
	v_lshrrev_b32_e32 v0, 16, v0
	v_cmp_o_f32_e32 vcc, v82, v82
	v_cndmask_b32_e32 v0, v106, v0, vcc
	ds_write_b16 v107, v0
	v_bfe_u32 v0, v83, 16, 1
	v_mfma_f32_16x16x16bf16_1k v[70:73], v[46:47], v[30:31], v[126:129]
	v_add3_u32 v0, v83, v0, s0
	v_lshrrev_b32_e32 v0, 16, v0
	v_cmp_o_f32_e32 vcc, v83, v83
	v_cndmask_b32_e32 v0, v106, v0, vcc
	ds_write_b16 v107, v0 offset:128
	v_bfe_u32 v0, v84, 16, 1
	v_add3_u32 v0, v84, v0, s0
	v_mfma_f32_16x16x16bf16_1k v[50:53], v[52:53], v[8:9], v[66:69]
	v_lshrrev_b32_e32 v0, 16, v0
	v_cmp_o_f32_e32 vcc, v84, v84
	v_cndmask_b32_e32 v0, v106, v0, vcc
	ds_write_b16 v107, v0 offset:256
	v_bfe_u32 v0, v85, 16, 1
	v_add3_u32 v0, v85, v0, s0
	v_lshrrev_b32_e32 v0, 16, v0
	v_mfma_f32_16x16x16bf16_1k v[70:73], v[48:49], v[32:33], v[70:73]
	v_cmp_o_f32_e32 vcc, v85, v85
	v_cndmask_b32_e32 v0, v106, v0, vcc
	ds_write_b16 v107, v0 offset:384
	v_bfe_u32 v0, v53, 16, 1
	v_add3_u32 v0, v53, v0, s0
	v_lshrrev_b32_e32 v0, 16, v0
	v_cmp_o_f32_e32 vcc, v53, v53
	v_cndmask_b32_e32 v0, v106, v0, vcc
	ds_write_b16 v107, v0 offset:448
	v_bfe_u32 v0, v52, 16, 1
	v_add3_u32 v0, v52, v0, s0
	v_mfma_f32_16x16x16bf16_1k v[70:73], v[34:35], v[10:11], v[70:73]
	v_lshrrev_b32_e32 v0, 16, v0
	v_cmp_o_f32_e32 vcc, v52, v52
	v_cndmask_b32_e32 v0, v106, v0, vcc
	ds_write_b16 v107, v0 offset:320
	v_bfe_u32 v0, v51, 16, 1
	v_add3_u32 v0, v51, v0, s0
	v_lshrrev_b32_e32 v0, 16, v0
	v_mfma_f32_16x16x16bf16_1k v[90:93], v[46:47], v[22:23], v[118:121]
	v_cmp_o_f32_e32 vcc, v51, v51
	v_cndmask_b32_e32 v0, v106, v0, vcc
	ds_write_b16 v107, v0 offset:192
	v_bfe_u32 v0, v50, 16, 1
	v_add3_u32 v0, v50, v0, s0
	v_cmp_o_f32_e32 vcc, v50, v50
	v_lshrrev_b32_e32 v0, 16, v0
	v_mfma_f32_16x16x16bf16_1k v[50:53], v[36:37], v[12:13], v[70:73]
	v_cndmask_b32_e32 v0, v106, v0, vcc
	ds_write_b16 v107, v0 offset:64
	s_waitcnt lgkmcnt(0)
	s_barrier
	s_waitcnt lgkmcnt(0)
	s_barrier
	s_nop 4
	v_bfe_u32 v0, v50, 16, 1
	v_mfma_f32_16x16x16bf16_1k v[66:69], v[48:49], v[24:25], v[90:93]
	v_add3_u32 v0, v50, v0, s0
	v_lshrrev_b32_e32 v0, 16, v0
	v_cmp_o_f32_e32 vcc, v50, v50
	v_cndmask_b32_e32 v0, v106, v0, vcc
	ds_write_b16 v107, v0
	v_bfe_u32 v0, v51, 16, 1
	v_add3_u32 v0, v51, v0, s0
	v_mfma_f32_16x16x16bf16_1k v[82:85], v[46:47], v[42:43], v[86:89]
	v_lshrrev_b32_e32 v0, 16, v0
	v_cmp_o_f32_e32 vcc, v51, v51
	v_cndmask_b32_e32 v0, v106, v0, vcc
	ds_write_b16 v107, v0 offset:128
	v_bfe_u32 v0, v52, 16, 1
	v_add3_u32 v0, v52, v0, s0
	v_lshrrev_b32_e32 v0, 16, v0
	v_mfma_f32_16x16x16bf16_1k v[66:69], v[34:35], v[6:7], v[66:69]
	v_cmp_o_f32_e32 vcc, v52, v52
	v_cndmask_b32_e32 v0, v106, v0, vcc
	ds_write_b16 v107, v0 offset:256
	v_bfe_u32 v0, v53, 16, 1
	v_add3_u32 v0, v53, v0, s0
	v_cmp_o_f32_e32 vcc, v53, v53
	v_lshrrev_b32_e32 v0, 16, v0
	v_mfma_f32_16x16x16bf16_1k v[70:73], v[48:49], v[44:45], v[82:85]
	v_cndmask_b32_e32 v0, v106, v0, vcc
	ds_write_b16 v107, v0 offset:384
	v_mfma_f32_16x16x16bf16_1k v[66:69], v[36:37], v[8:9], v[66:69]
	v_mfma_f32_16x16x16bf16_1k v[50:53], v[46:47], v[38:39], v[78:81]
	s_nop 7
	s_nop 1
	v_bfe_u32 v0, v69, 16, 1
	v_add3_u32 v0, v69, v0, s0
	v_lshrrev_b32_e32 v0, 16, v0
	v_cmp_o_f32_e32 vcc, v69, v69
	v_cndmask_b32_e32 v0, v106, v0, vcc
	ds_write_b16 v107, v0 offset:448
	v_bfe_u32 v0, v68, 16, 1
	v_mfma_f32_16x16x16bf16_1k v[46:49], v[48:49], v[40:41], v[50:53]
	v_add3_u32 v0, v68, v0, s0
	v_lshrrev_b32_e32 v0, 16, v0
	v_cmp_o_f32_e32 vcc, v68, v68
	v_cndmask_b32_e32 v0, v106, v0, vcc
	ds_write_b16 v107, v0 offset:320
	v_bfe_u32 v0, v67, 16, 1
	v_add3_u32 v0, v67, v0, s0
	v_mfma_f32_16x16x16bf16_1k v[50:53], v[34:35], v[26:27], v[70:73]
	v_lshrrev_b32_e32 v0, 16, v0
	v_cmp_o_f32_e32 vcc, v67, v67
	v_cndmask_b32_e32 v0, v106, v0, vcc
	ds_write_b16 v107, v0 offset:192
	v_bfe_u32 v0, v66, 16, 1
	v_add3_u32 v0, v66, v0, s0
	v_lshrrev_b32_e32 v0, 16, v0
	v_mfma_f32_16x16x16bf16_1k v[50:53], v[36:37], v[28:29], v[50:53]
	v_cmp_o_f32_e32 vcc, v66, v66
	v_cndmask_b32_e32 v0, v106, v0, vcc
	ds_write_b16 v107, v0 offset:64
	s_waitcnt lgkmcnt(0)
	s_barrier
	s_waitcnt lgkmcnt(0)
	s_barrier
	s_nop 3
	v_bfe_u32 v0, v50, 16, 1
	v_mfma_f32_16x16x16bf16_1k v[46:49], v[34:35], v[18:19], v[46:49]
	v_add3_u32 v0, v50, v0, s0
	v_lshrrev_b32_e32 v0, 16, v0
	v_cmp_o_f32_e32 vcc, v50, v50
	v_cndmask_b32_e32 v0, v106, v0, vcc
	ds_write_b16 v107, v0
	v_bfe_u32 v0, v51, 16, 1
	v_add3_u32 v0, v51, v0, s0
	v_mfma_f32_16x16x16bf16_1k v[66:69], v[14:15], v[42:43], v[74:77]
	v_lshrrev_b32_e32 v0, 16, v0
	v_cmp_o_f32_e32 vcc, v51, v51
	v_cndmask_b32_e32 v0, v106, v0, vcc
	ds_write_b16 v107, v0 offset:128
	v_bfe_u32 v0, v52, 16, 1
	v_add3_u32 v0, v52, v0, s0
	v_lshrrev_b32_e32 v0, 16, v0
	v_mfma_f32_16x16x16bf16_1k v[34:37], v[36:37], v[20:21], v[46:49]
	v_cmp_o_f32_e32 vcc, v52, v52
	v_cndmask_b32_e32 v0, v106, v0, vcc
	ds_write_b16 v107, v0 offset:256
	v_bfe_u32 v0, v53, 16, 1
	v_add3_u32 v0, v53, v0, s0
	v_lshrrev_b32_e32 v0, 16, v0
	v_cmp_o_f32_e32 vcc, v53, v53
	v_mfma_f32_16x16x16bf16_1k v[42:45], v[16:17], v[44:45], v[66:69]
	v_cndmask_b32_e32 v0, v106, v0, vcc
	ds_write_b16 v107, v0 offset:384
	s_nop 0
	v_bfe_u32 v0, v37, 16, 1
	v_add3_u32 v0, v37, v0, s0
	v_lshrrev_b32_e32 v0, 16, v0
	v_cmp_o_f32_e32 vcc, v37, v37
	v_cndmask_b32_e32 v0, v106, v0, vcc
	ds_write_b16 v107, v0 offset:448
	v_bfe_u32 v0, v36, 16, 1
	v_add3_u32 v0, v36, v0, s0
	v_mfma_f32_16x16x16bf16_1k v[46:49], v[14:15], v[38:39], v[54:57]
	v_cmp_o_f32_e32 vcc, v36, v36
	v_lshrrev_b32_e32 v0, 16, v0
	v_cndmask_b32_e32 v0, v106, v0, vcc
	ds_write_b16 v107, v0 offset:320
	v_bfe_u32 v0, v35, 16, 1
	v_add3_u32 v0, v35, v0, s0
	v_lshrrev_b32_e32 v0, 16, v0
	v_mfma_f32_16x16x16bf16_1k v[36:39], v[2:3], v[26:27], v[42:45]
	v_cmp_o_f32_e32 vcc, v35, v35
	v_cndmask_b32_e32 v0, v106, v0, vcc
	ds_write_b16 v107, v0 offset:192
	v_bfe_u32 v0, v34, 16, 1
	v_add3_u32 v0, v34, v0, s0
	v_lshrrev_b32_e32 v0, 16, v0
	v_cmp_o_f32_e32 vcc, v34, v34
	v_mfma_f32_16x16x16bf16_1k v[26:29], v[4:5], v[28:29], v[36:39]
	v_cndmask_b32_e32 v0, v106, v0, vcc
	ds_write_b16 v107, v0 offset:64
	s_waitcnt lgkmcnt(0)
	s_barrier
	s_waitcnt lgkmcnt(0)
	s_barrier
	s_nop 4
	v_bfe_u32 v0, v26, 16, 1
	v_add3_u32 v0, v26, v0, s0
	v_lshrrev_b32_e32 v0, 16, v0
	v_cmp_o_f32_e32 vcc, v26, v26
	v_mfma_f32_16x16x16bf16_1k v[34:37], v[16:17], v[40:41], v[46:49]
	v_cndmask_b32_e32 v0, v106, v0, vcc
	ds_write_b16 v107, v0
	v_bfe_u32 v0, v27, 16, 1
	v_add3_u32 v0, v27, v0, s0
	v_lshrrev_b32_e32 v0, 16, v0
	v_cmp_o_f32_e32 vcc, v27, v27
	v_cndmask_b32_e32 v0, v106, v0, vcc
	ds_write_b16 v107, v0 offset:128
	v_bfe_u32 v0, v28, 16, 1
	v_add3_u32 v0, v28, v0, s0
	v_lshrrev_b32_e32 v0, 16, v0
	v_cmp_o_f32_e32 vcc, v28, v28
	v_mfma_f32_16x16x16bf16_1k v[34:37], v[2:3], v[18:19], v[34:37]
	v_cndmask_b32_e32 v0, v106, v0, vcc
	ds_write_b16 v107, v0 offset:256
	v_bfe_u32 v0, v29, 16, 1
	v_add3_u32 v0, v29, v0, s0
	v_cmp_o_f32_e32 vcc, v29, v29
	v_lshrrev_b32_e32 v0, 16, v0
	v_cndmask_b32_e32 v0, v106, v0, vcc
	v_mfma_f32_16x16x16bf16_1k v[26:29], v[14:15], v[30:31], v[62:65]
	ds_write_b16 v107, v0 offset:384
	v_mfma_f32_16x16x16bf16_1k v[18:21], v[4:5], v[20:21], v[34:37]
	v_mfma_f32_16x16x16bf16_1k v[26:29], v[16:17], v[32:33], v[26:29]
	s_nop 7
	s_nop 1
	v_bfe_u32 v0, v21, 16, 1
	v_add3_u32 v0, v21, v0, s0
	v_lshrrev_b32_e32 v0, 16, v0
	v_cmp_o_f32_e32 vcc, v21, v21
	v_cndmask_b32_e32 v0, v106, v0, vcc
	ds_write_b16 v107, v0 offset:448
	v_bfe_u32 v0, v20, 16, 1
	v_mfma_f32_16x16x16bf16_1k v[26:29], v[2:3], v[10:11], v[26:29]
	v_add3_u32 v0, v20, v0, s0
	v_lshrrev_b32_e32 v0, 16, v0
	v_cmp_o_f32_e32 vcc, v20, v20
	v_cndmask_b32_e32 v0, v106, v0, vcc
	ds_write_b16 v107, v0 offset:320
	v_bfe_u32 v0, v19, 16, 1
	v_add3_u32 v0, v19, v0, s0
	v_lshrrev_b32_e32 v0, 16, v0
	v_cmp_o_f32_e32 vcc, v19, v19
	v_mfma_f32_16x16x16bf16_1k v[10:13], v[4:5], v[12:13], v[26:29]
	v_cndmask_b32_e32 v0, v106, v0, vcc
	ds_write_b16 v107, v0 offset:192
	v_bfe_u32 v0, v18, 16, 1
	v_add3_u32 v0, v18, v0, s0
	v_cmp_o_f32_e32 vcc, v18, v18
	v_lshrrev_b32_e32 v0, 16, v0
	v_cndmask_b32_e32 v0, v106, v0, vcc
	v_mfma_f32_16x16x16bf16_1k v[18:21], v[14:15], v[22:23], v[58:61]
	ds_write_b16 v107, v0 offset:64
	s_nop 1
	v_bfe_u32 v0, v10, 16, 1
	v_add3_u32 v0, v10, v0, s0
	v_lshrrev_b32_e32 v0, 16, v0
	v_cmp_o_f32_e32 vcc, v10, v10
	v_cndmask_b32_e32 v0, v106, v0, vcc
	s_waitcnt lgkmcnt(0)
	v_mfma_f32_16x16x16bf16_1k v[14:17], v[16:17], v[24:25], v[18:21]
	s_barrier
	s_waitcnt lgkmcnt(0)
	s_barrier
	ds_write_b16 v107, v0
	v_bfe_u32 v0, v11, 16, 1
	v_add3_u32 v0, v11, v0, s0
	v_lshrrev_b32_e32 v0, 16, v0
	v_cmp_o_f32_e32 vcc, v11, v11
	v_cndmask_b32_e32 v0, v106, v0, vcc
	ds_write_b16 v107, v0 offset:128
	v_bfe_u32 v0, v12, 16, 1
	v_add3_u32 v0, v12, v0, s0
	v_lshrrev_b32_e32 v0, 16, v0
	v_cmp_o_f32_e32 vcc, v12, v12
	v_cndmask_b32_e32 v10, v106, v0, vcc
	v_mfma_f32_16x16x16bf16_1k v[0:3], v[2:3], v[6:7], v[14:17]
	v_bfe_u32 v6, v13, 16, 1
	v_add3_u32 v6, v13, v6, s0
	v_lshrrev_b32_e32 v6, 16, v6
	v_cmp_o_f32_e32 vcc, v13, v13
	v_cndmask_b32_e32 v6, v106, v6, vcc
	ds_write_b16 v107, v10 offset:256
	ds_write_b16 v107, v6 offset:384
	v_mfma_f32_16x16x16bf16_1k v[0:3], v[4:5], v[8:9], v[0:3]
	s_nop 7
	s_nop 2
	v_bfe_u32 v4, v3, 16, 1
	v_add3_u32 v4, v3, v4, s0
	v_lshrrev_b32_e32 v4, 16, v4
	v_cmp_o_f32_e32 vcc, v3, v3
	v_cndmask_b32_e32 v3, v106, v4, vcc
	ds_write_b16 v107, v3 offset:448
	v_bfe_u32 v3, v2, 16, 1
	v_add3_u32 v3, v2, v3, s0
	v_lshrrev_b32_e32 v3, 16, v3
	v_cmp_o_f32_e32 vcc, v2, v2
	v_cndmask_b32_e32 v2, v106, v3, vcc
	ds_write_b16 v107, v2 offset:320
	;; [unrolled: 6-line block ×4, first 2 shown]
	s_waitcnt lgkmcnt(0)
	s_barrier
	s_endpgm
	.section	.rodata,"a",@progbits
	.p2align	6, 0x0
	.amdhsa_kernel _ZN2ck27kernel_gemm_xdl_cshuffle_v3INS_28GridwiseGemm_xdl_cshuffle_v3INS_13tensor_layout4gemm8RowMajorENS3_11ColumnMajorES4_ttfttNS_16tensor_operation12element_wise11PassThroughES8_S8_LNS6_6device18GemmSpecializationE0ELi256ELi128ELi128ELi64ELi8ELi8ELi16ELi16ELi4ELi4ENS_8SequenceIJLi8ELi32ELi1EEEENSB_IJLi1ELi0ELi2EEEESD_Li2ELi8ELi8ELb0ELi0ESC_SD_SD_Li2ELi8ELi8ELb0ELi0ELi1ELi2ENSB_IJLi1ELi32ELi1ELi8EEEELi8ELNS_26BlockGemmPipelineSchedulerE0ELNS_24BlockGemmPipelineVersionE2EttLb0ELb0ELb0ELi0ELb0EEELb1ELNS_25InMemoryDataOperationEnumE1ELi2ELNS_10TailNumberE10EEEvNT_8ArgumentE
		.amdhsa_group_segment_fixed_size 32768
		.amdhsa_private_segment_fixed_size 0
		.amdhsa_kernarg_size 112
		.amdhsa_user_sgpr_count 6
		.amdhsa_user_sgpr_private_segment_buffer 1
		.amdhsa_user_sgpr_dispatch_ptr 0
		.amdhsa_user_sgpr_queue_ptr 0
		.amdhsa_user_sgpr_kernarg_segment_ptr 1
		.amdhsa_user_sgpr_dispatch_id 0
		.amdhsa_user_sgpr_flat_scratch_init 0
		.amdhsa_user_sgpr_kernarg_preload_length 0
		.amdhsa_user_sgpr_kernarg_preload_offset 0
		.amdhsa_user_sgpr_private_segment_size 0
		.amdhsa_uses_dynamic_stack 0
		.amdhsa_system_sgpr_private_segment_wavefront_offset 0
		.amdhsa_system_sgpr_workgroup_id_x 1
		.amdhsa_system_sgpr_workgroup_id_y 0
		.amdhsa_system_sgpr_workgroup_id_z 1
		.amdhsa_system_sgpr_workgroup_info 0
		.amdhsa_system_vgpr_workitem_id 0
		.amdhsa_next_free_vgpr 197
		.amdhsa_next_free_sgpr 24
		.amdhsa_accum_offset 200
		.amdhsa_reserve_vcc 1
		.amdhsa_reserve_flat_scratch 0
		.amdhsa_float_round_mode_32 0
		.amdhsa_float_round_mode_16_64 0
		.amdhsa_float_denorm_mode_32 3
		.amdhsa_float_denorm_mode_16_64 3
		.amdhsa_dx10_clamp 1
		.amdhsa_ieee_mode 1
		.amdhsa_fp16_overflow 0
		.amdhsa_tg_split 0
		.amdhsa_exception_fp_ieee_invalid_op 0
		.amdhsa_exception_fp_denorm_src 0
		.amdhsa_exception_fp_ieee_div_zero 0
		.amdhsa_exception_fp_ieee_overflow 0
		.amdhsa_exception_fp_ieee_underflow 0
		.amdhsa_exception_fp_ieee_inexact 0
		.amdhsa_exception_int_div_zero 0
	.end_amdhsa_kernel
	.section	.text._ZN2ck27kernel_gemm_xdl_cshuffle_v3INS_28GridwiseGemm_xdl_cshuffle_v3INS_13tensor_layout4gemm8RowMajorENS3_11ColumnMajorES4_ttfttNS_16tensor_operation12element_wise11PassThroughES8_S8_LNS6_6device18GemmSpecializationE0ELi256ELi128ELi128ELi64ELi8ELi8ELi16ELi16ELi4ELi4ENS_8SequenceIJLi8ELi32ELi1EEEENSB_IJLi1ELi0ELi2EEEESD_Li2ELi8ELi8ELb0ELi0ESC_SD_SD_Li2ELi8ELi8ELb0ELi0ELi1ELi2ENSB_IJLi1ELi32ELi1ELi8EEEELi8ELNS_26BlockGemmPipelineSchedulerE0ELNS_24BlockGemmPipelineVersionE2EttLb0ELb0ELb0ELi0ELb0EEELb1ELNS_25InMemoryDataOperationEnumE1ELi2ELNS_10TailNumberE10EEEvNT_8ArgumentE,"axG",@progbits,_ZN2ck27kernel_gemm_xdl_cshuffle_v3INS_28GridwiseGemm_xdl_cshuffle_v3INS_13tensor_layout4gemm8RowMajorENS3_11ColumnMajorES4_ttfttNS_16tensor_operation12element_wise11PassThroughES8_S8_LNS6_6device18GemmSpecializationE0ELi256ELi128ELi128ELi64ELi8ELi8ELi16ELi16ELi4ELi4ENS_8SequenceIJLi8ELi32ELi1EEEENSB_IJLi1ELi0ELi2EEEESD_Li2ELi8ELi8ELb0ELi0ESC_SD_SD_Li2ELi8ELi8ELb0ELi0ELi1ELi2ENSB_IJLi1ELi32ELi1ELi8EEEELi8ELNS_26BlockGemmPipelineSchedulerE0ELNS_24BlockGemmPipelineVersionE2EttLb0ELb0ELb0ELi0ELb0EEELb1ELNS_25InMemoryDataOperationEnumE1ELi2ELNS_10TailNumberE10EEEvNT_8ArgumentE,comdat
.Lfunc_end1:
	.size	_ZN2ck27kernel_gemm_xdl_cshuffle_v3INS_28GridwiseGemm_xdl_cshuffle_v3INS_13tensor_layout4gemm8RowMajorENS3_11ColumnMajorES4_ttfttNS_16tensor_operation12element_wise11PassThroughES8_S8_LNS6_6device18GemmSpecializationE0ELi256ELi128ELi128ELi64ELi8ELi8ELi16ELi16ELi4ELi4ENS_8SequenceIJLi8ELi32ELi1EEEENSB_IJLi1ELi0ELi2EEEESD_Li2ELi8ELi8ELb0ELi0ESC_SD_SD_Li2ELi8ELi8ELb0ELi0ELi1ELi2ENSB_IJLi1ELi32ELi1ELi8EEEELi8ELNS_26BlockGemmPipelineSchedulerE0ELNS_24BlockGemmPipelineVersionE2EttLb0ELb0ELb0ELi0ELb0EEELb1ELNS_25InMemoryDataOperationEnumE1ELi2ELNS_10TailNumberE10EEEvNT_8ArgumentE, .Lfunc_end1-_ZN2ck27kernel_gemm_xdl_cshuffle_v3INS_28GridwiseGemm_xdl_cshuffle_v3INS_13tensor_layout4gemm8RowMajorENS3_11ColumnMajorES4_ttfttNS_16tensor_operation12element_wise11PassThroughES8_S8_LNS6_6device18GemmSpecializationE0ELi256ELi128ELi128ELi64ELi8ELi8ELi16ELi16ELi4ELi4ENS_8SequenceIJLi8ELi32ELi1EEEENSB_IJLi1ELi0ELi2EEEESD_Li2ELi8ELi8ELb0ELi0ESC_SD_SD_Li2ELi8ELi8ELb0ELi0ELi1ELi2ENSB_IJLi1ELi32ELi1ELi8EEEELi8ELNS_26BlockGemmPipelineSchedulerE0ELNS_24BlockGemmPipelineVersionE2EttLb0ELb0ELb0ELi0ELb0EEELb1ELNS_25InMemoryDataOperationEnumE1ELi2ELNS_10TailNumberE10EEEvNT_8ArgumentE
                                        ; -- End function
	.section	.AMDGPU.csdata,"",@progbits
; Kernel info:
; codeLenInByte = 6344
; NumSgprs: 28
; NumVgprs: 197
; NumAgprs: 0
; TotalNumVgprs: 197
; ScratchSize: 0
; MemoryBound: 0
; FloatMode: 240
; IeeeMode: 1
; LDSByteSize: 32768 bytes/workgroup (compile time only)
; SGPRBlocks: 3
; VGPRBlocks: 24
; NumSGPRsForWavesPerEU: 28
; NumVGPRsForWavesPerEU: 197
; AccumOffset: 200
; Occupancy: 2
; WaveLimiterHint : 0
; COMPUTE_PGM_RSRC2:SCRATCH_EN: 0
; COMPUTE_PGM_RSRC2:USER_SGPR: 6
; COMPUTE_PGM_RSRC2:TRAP_HANDLER: 0
; COMPUTE_PGM_RSRC2:TGID_X_EN: 1
; COMPUTE_PGM_RSRC2:TGID_Y_EN: 0
; COMPUTE_PGM_RSRC2:TGID_Z_EN: 1
; COMPUTE_PGM_RSRC2:TIDIG_COMP_CNT: 0
; COMPUTE_PGM_RSRC3_GFX90A:ACCUM_OFFSET: 49
; COMPUTE_PGM_RSRC3_GFX90A:TG_SPLIT: 0
	.section	.text._ZN2ck27kernel_gemm_xdl_cshuffle_v3INS_28GridwiseGemm_xdl_cshuffle_v3INS_13tensor_layout4gemm8RowMajorENS3_11ColumnMajorES4_ttfttNS_16tensor_operation12element_wise11PassThroughES8_S8_LNS6_6device18GemmSpecializationE0ELi256ELi128ELi128ELi64ELi8ELi8ELi16ELi16ELi4ELi4ENS_8SequenceIJLi8ELi32ELi1EEEENSB_IJLi1ELi0ELi2EEEESD_Li2ELi8ELi8ELb0ELi0ESC_SD_SD_Li2ELi8ELi8ELb0ELi0ELi1ELi2ENSB_IJLi1ELi32ELi1ELi8EEEELi8ELNS_26BlockGemmPipelineSchedulerE0ELNS_24BlockGemmPipelineVersionE2EttLb0ELb0ELb0ELi0ELb0EEELb1ELNS_25InMemoryDataOperationEnumE0ELi2ELNS_10TailNumberE10EEEvNT_8ArgumentE,"axG",@progbits,_ZN2ck27kernel_gemm_xdl_cshuffle_v3INS_28GridwiseGemm_xdl_cshuffle_v3INS_13tensor_layout4gemm8RowMajorENS3_11ColumnMajorES4_ttfttNS_16tensor_operation12element_wise11PassThroughES8_S8_LNS6_6device18GemmSpecializationE0ELi256ELi128ELi128ELi64ELi8ELi8ELi16ELi16ELi4ELi4ENS_8SequenceIJLi8ELi32ELi1EEEENSB_IJLi1ELi0ELi2EEEESD_Li2ELi8ELi8ELb0ELi0ESC_SD_SD_Li2ELi8ELi8ELb0ELi0ELi1ELi2ENSB_IJLi1ELi32ELi1ELi8EEEELi8ELNS_26BlockGemmPipelineSchedulerE0ELNS_24BlockGemmPipelineVersionE2EttLb0ELb0ELb0ELi0ELb0EEELb1ELNS_25InMemoryDataOperationEnumE0ELi2ELNS_10TailNumberE10EEEvNT_8ArgumentE,comdat
	.protected	_ZN2ck27kernel_gemm_xdl_cshuffle_v3INS_28GridwiseGemm_xdl_cshuffle_v3INS_13tensor_layout4gemm8RowMajorENS3_11ColumnMajorES4_ttfttNS_16tensor_operation12element_wise11PassThroughES8_S8_LNS6_6device18GemmSpecializationE0ELi256ELi128ELi128ELi64ELi8ELi8ELi16ELi16ELi4ELi4ENS_8SequenceIJLi8ELi32ELi1EEEENSB_IJLi1ELi0ELi2EEEESD_Li2ELi8ELi8ELb0ELi0ESC_SD_SD_Li2ELi8ELi8ELb0ELi0ELi1ELi2ENSB_IJLi1ELi32ELi1ELi8EEEELi8ELNS_26BlockGemmPipelineSchedulerE0ELNS_24BlockGemmPipelineVersionE2EttLb0ELb0ELb0ELi0ELb0EEELb1ELNS_25InMemoryDataOperationEnumE0ELi2ELNS_10TailNumberE10EEEvNT_8ArgumentE ; -- Begin function _ZN2ck27kernel_gemm_xdl_cshuffle_v3INS_28GridwiseGemm_xdl_cshuffle_v3INS_13tensor_layout4gemm8RowMajorENS3_11ColumnMajorES4_ttfttNS_16tensor_operation12element_wise11PassThroughES8_S8_LNS6_6device18GemmSpecializationE0ELi256ELi128ELi128ELi64ELi8ELi8ELi16ELi16ELi4ELi4ENS_8SequenceIJLi8ELi32ELi1EEEENSB_IJLi1ELi0ELi2EEEESD_Li2ELi8ELi8ELb0ELi0ESC_SD_SD_Li2ELi8ELi8ELb0ELi0ELi1ELi2ENSB_IJLi1ELi32ELi1ELi8EEEELi8ELNS_26BlockGemmPipelineSchedulerE0ELNS_24BlockGemmPipelineVersionE2EttLb0ELb0ELb0ELi0ELb0EEELb1ELNS_25InMemoryDataOperationEnumE0ELi2ELNS_10TailNumberE10EEEvNT_8ArgumentE
	.globl	_ZN2ck27kernel_gemm_xdl_cshuffle_v3INS_28GridwiseGemm_xdl_cshuffle_v3INS_13tensor_layout4gemm8RowMajorENS3_11ColumnMajorES4_ttfttNS_16tensor_operation12element_wise11PassThroughES8_S8_LNS6_6device18GemmSpecializationE0ELi256ELi128ELi128ELi64ELi8ELi8ELi16ELi16ELi4ELi4ENS_8SequenceIJLi8ELi32ELi1EEEENSB_IJLi1ELi0ELi2EEEESD_Li2ELi8ELi8ELb0ELi0ESC_SD_SD_Li2ELi8ELi8ELb0ELi0ELi1ELi2ENSB_IJLi1ELi32ELi1ELi8EEEELi8ELNS_26BlockGemmPipelineSchedulerE0ELNS_24BlockGemmPipelineVersionE2EttLb0ELb0ELb0ELi0ELb0EEELb1ELNS_25InMemoryDataOperationEnumE0ELi2ELNS_10TailNumberE10EEEvNT_8ArgumentE
	.p2align	8
	.type	_ZN2ck27kernel_gemm_xdl_cshuffle_v3INS_28GridwiseGemm_xdl_cshuffle_v3INS_13tensor_layout4gemm8RowMajorENS3_11ColumnMajorES4_ttfttNS_16tensor_operation12element_wise11PassThroughES8_S8_LNS6_6device18GemmSpecializationE0ELi256ELi128ELi128ELi64ELi8ELi8ELi16ELi16ELi4ELi4ENS_8SequenceIJLi8ELi32ELi1EEEENSB_IJLi1ELi0ELi2EEEESD_Li2ELi8ELi8ELb0ELi0ESC_SD_SD_Li2ELi8ELi8ELb0ELi0ELi1ELi2ENSB_IJLi1ELi32ELi1ELi8EEEELi8ELNS_26BlockGemmPipelineSchedulerE0ELNS_24BlockGemmPipelineVersionE2EttLb0ELb0ELb0ELi0ELb0EEELb1ELNS_25InMemoryDataOperationEnumE0ELi2ELNS_10TailNumberE10EEEvNT_8ArgumentE,@function
_ZN2ck27kernel_gemm_xdl_cshuffle_v3INS_28GridwiseGemm_xdl_cshuffle_v3INS_13tensor_layout4gemm8RowMajorENS3_11ColumnMajorES4_ttfttNS_16tensor_operation12element_wise11PassThroughES8_S8_LNS6_6device18GemmSpecializationE0ELi256ELi128ELi128ELi64ELi8ELi8ELi16ELi16ELi4ELi4ENS_8SequenceIJLi8ELi32ELi1EEEENSB_IJLi1ELi0ELi2EEEESD_Li2ELi8ELi8ELb0ELi0ESC_SD_SD_Li2ELi8ELi8ELb0ELi0ELi1ELi2ENSB_IJLi1ELi32ELi1ELi8EEEELi8ELNS_26BlockGemmPipelineSchedulerE0ELNS_24BlockGemmPipelineVersionE2EttLb0ELb0ELb0ELi0ELb0EEELb1ELNS_25InMemoryDataOperationEnumE0ELi2ELNS_10TailNumberE10EEEvNT_8ArgumentE: ; @_ZN2ck27kernel_gemm_xdl_cshuffle_v3INS_28GridwiseGemm_xdl_cshuffle_v3INS_13tensor_layout4gemm8RowMajorENS3_11ColumnMajorES4_ttfttNS_16tensor_operation12element_wise11PassThroughES8_S8_LNS6_6device18GemmSpecializationE0ELi256ELi128ELi128ELi64ELi8ELi8ELi16ELi16ELi4ELi4ENS_8SequenceIJLi8ELi32ELi1EEEENSB_IJLi1ELi0ELi2EEEESD_Li2ELi8ELi8ELb0ELi0ESC_SD_SD_Li2ELi8ELi8ELb0ELi0ELi1ELi2ENSB_IJLi1ELi32ELi1ELi8EEEELi8ELNS_26BlockGemmPipelineSchedulerE0ELNS_24BlockGemmPipelineVersionE2EttLb0ELb0ELb0ELi0ELb0EEELb1ELNS_25InMemoryDataOperationEnumE0ELi2ELNS_10TailNumberE10EEEvNT_8ArgumentE
; %bb.0:
	s_load_dwordx8 s[8:15], s[4:5], 0x10
	s_waitcnt lgkmcnt(0)
	s_load_dword s15, s[4:5], 0x68
	s_load_dwordx2 s[16:17], s[4:5], 0x60
	s_load_dwordx4 s[0:3], s[4:5], 0x50
	s_cmp_gt_i32 s14, 1
	s_cselect_b64 s[18:19], -1, 0
	s_waitcnt lgkmcnt(0)
	s_bitcmp1_b32 s15, 0
	s_cselect_b64 s[20:21], -1, 0
	s_and_b64 s[18:19], s[18:19], s[20:21]
	s_andn2_b64 vcc, exec, s[18:19]
	s_mov_b64 s[18:19], 0
	s_cbranch_vccnz .LBB2_2
; %bb.1:
	s_mul_i32 s15, s8, s7
	s_mul_i32 s18, s15, s9
	s_ashr_i32 s19, s18, 31
.LBB2_2:
	s_load_dword s24, s[4:5], 0x34
	s_load_dword s23, s[4:5], 0x3c
	s_add_i32 s4, s8, -1
	s_mov_b32 s15, 0
	s_cmpk_lt_u32 s4, 0x80
	s_movk_i32 s20, 0x80
	s_cbranch_scc1 .LBB2_10
; %bb.3:
	s_add_i32 s4, s9, -1
	s_cmpk_lt_u32 s4, 0x80
	s_mov_b32 s4, 0
	s_cbranch_scc1 .LBB2_9
; %bb.4:
	s_add_i32 s4, s8, 0x7f
	s_ashr_i32 s5, s4, 31
	s_lshr_b32 s5, s5, 25
	s_add_i32 s4, s4, s5
	s_ashr_i32 s21, s4, 7
	s_add_i32 s4, s9, 0x7f
	s_ashr_i32 s5, s4, 31
	s_lshr_b32 s5, s5, 25
	s_add_i32 s4, s4, s5
	s_ashr_i32 s15, s4, 7
	s_mul_i32 s4, s15, s21
	s_add_i32 s5, s4, 7
	s_ashr_i32 s22, s5, 31
	s_lshr_b32 s22, s22, 29
	s_add_i32 s5, s5, s22
	s_ashr_i32 s22, s5, 3
	s_and_b32 s5, s5, -8
	s_sub_i32 s25, s4, s5
	s_ashr_i32 s4, s6, 31
	s_lshr_b32 s4, s4, 29
	s_add_i32 s27, s6, s4
	s_and_b32 s4, s27, -8
	s_add_i32 s25, s25, 8
	s_sub_i32 s26, s6, s4
	s_cmp_gt_i32 s26, s25
	s_cbranch_scc1 .LBB2_6
; %bb.5:
	s_mul_i32 s6, s22, s26
	s_ashr_i32 s4, s27, 3
	s_cbranch_execz .LBB2_7
	s_branch .LBB2_8
.LBB2_6:
                                        ; implicit-def: $sgpr6
	s_ashr_i32 s4, s27, 3
.LBB2_7:
	s_add_i32 s5, s22, -1
	s_mul_i32 s5, s5, s26
	s_add_i32 s6, s25, s5
.LBB2_8:
	s_abs_i32 s5, s15
	v_cvt_f32_u32_e32 v1, s5
	s_sub_i32 s25, 0, s5
	s_add_i32 s4, s6, s4
	s_abs_i32 s22, s4
	v_rcp_iflag_f32_e32 v1, v1
	s_xor_b32 s6, s4, s15
	s_ashr_i32 s6, s6, 31
	v_mul_f32_e32 v1, 0x4f7ffffe, v1
	v_cvt_u32_f32_e32 v1, v1
	v_readfirstlane_b32 s26, v1
	s_mul_i32 s25, s25, s26
	s_mul_hi_u32 s25, s26, s25
	s_add_i32 s26, s26, s25
	s_mul_hi_u32 s25, s22, s26
	s_mul_i32 s26, s25, s5
	s_sub_i32 s22, s22, s26
	s_add_i32 s27, s25, 1
	s_sub_i32 s26, s22, s5
	s_cmp_ge_u32 s22, s5
	s_cselect_b32 s25, s27, s25
	s_cselect_b32 s22, s26, s22
	s_add_i32 s26, s25, 1
	s_cmp_ge_u32 s22, s5
	s_cselect_b32 s5, s26, s25
	s_xor_b32 s5, s5, s6
	s_lshr_b32 s22, s21, 30
	s_sub_i32 s5, s5, s6
	s_add_i32 s22, s21, s22
	s_mul_i32 s6, s5, s15
	s_sub_i32 s4, s4, s6
	s_and_b32 s6, s22, -4
	s_sub_i32 s21, s21, s6
	s_cmp_ge_i32 s5, s6
	s_cselect_b32 s6, s21, 4
	s_abs_i32 s22, s6
	v_cvt_f32_u32_e32 v1, s22
	s_ashr_i32 s21, s5, 31
	s_lshr_b32 s21, s21, 30
	s_add_i32 s21, s5, s21
	v_rcp_iflag_f32_e32 v1, v1
	s_and_b32 s21, s21, -4
	s_sub_i32 s21, s5, s21
	s_sub_i32 s26, 0, s22
	v_mul_f32_e32 v1, 0x4f7ffffe, v1
	v_cvt_u32_f32_e32 v1, v1
	s_mul_i32 s15, s21, s15
	s_add_i32 s15, s15, s4
	s_abs_i32 s25, s15
	v_readfirstlane_b32 s27, v1
	s_mul_i32 s26, s26, s27
	s_mul_hi_u32 s26, s27, s26
	s_add_i32 s27, s27, s26
	s_mul_hi_u32 s26, s25, s27
	s_mul_i32 s27, s26, s22
	s_xor_b32 s4, s15, s6
	s_sub_i32 s25, s25, s27
	s_ashr_i32 s4, s4, 31
	s_add_i32 s27, s26, 1
	s_sub_i32 s28, s25, s22
	s_cmp_ge_u32 s25, s22
	s_cselect_b32 s26, s27, s26
	s_cselect_b32 s25, s28, s25
	s_add_i32 s27, s26, 1
	s_cmp_ge_u32 s25, s22
	s_cselect_b32 s22, s27, s26
	s_xor_b32 s22, s22, s4
	s_sub_i32 s4, s22, s4
	s_mul_i32 s6, s4, s6
	s_sub_i32 s6, s15, s6
	s_add_i32 s6, s6, s5
	s_sub_i32 s6, s6, s21
.LBB2_9:
	s_mov_b32 s15, s6
	s_mov_b32 s6, s4
.LBB2_10:
	s_waitcnt lgkmcnt(0)
	s_mul_i32 s4, s24, s7
	s_ashr_i32 s5, s4, 31
	s_lshl_b64 s[4:5], s[4:5], 1
	s_add_u32 s0, s0, s4
	s_addc_u32 s1, s1, s5
	s_add_u32 s4, s2, s4
	s_addc_u32 s5, s3, s5
	s_add_u32 s21, 0, 0
	s_addc_u32 s22, s8, -1
	s_add_u32 s3, 0, 0
	s_addc_u32 s3, s9, 0x7fffffff
	s_mul_i32 s25, s3, s12
	s_add_i32 s3, s14, -1
	s_mul_i32 s14, s3, s24
	s_sub_i32 s10, s10, s14
	s_cmp_lt_u32 s7, s3
	v_lshrrev_b32_e32 v55, 1, v0
	s_cselect_b32 s7, s24, s10
	s_lshl_b32 s3, s15, 7
	s_lshl_b32 s10, s6, 7
	v_and_b32_e32 v1, 0x7c, v55
	v_and_b32_e32 v54, 7, v0
	v_add_u32_e32 v56, s3, v1
	v_add_u32_e32 v59, s10, v1
	v_lshlrev_b32_e32 v2, 3, v54
	v_mul_lo_u32 v57, v56, s11
	v_and_b32_e32 v34, 4, v55
	v_mul_lo_u32 v60, v59, s12
	v_add_u32_e32 v3, v57, v2
	v_xor_b32_e32 v58, v34, v54
	v_lshlrev_b32_e32 v4, 6, v1
	v_add_u32_e32 v18, v60, v2
	v_and_b32_e32 v1, 63, v0
	v_and_b32_e32 v2, 48, v0
	v_lshl_or_b32 v35, v58, 3, v4
	v_sub_u32_e32 v4, v1, v2
	v_lshrrev_b32_e32 v1, 3, v0
	v_and_b32_e32 v5, 16, v1
	v_add_u32_e32 v36, v4, v5
	v_lshrrev_b32_e32 v37, 3, v2
	v_lshrrev_b16_e32 v2, 13, v36
	v_add_u16_e32 v2, v36, v2
	v_and_b32_e32 v2, -8, v2
	v_sub_u16_e32 v50, v36, v2
	v_lshrrev_b32_e32 v2, 2, v0
	v_and_b32_e32 v162, 16, v2
	v_add_u32_e32 v38, v4, v162
	v_mov_b32_e32 v39, 12
	v_lshrrev_b16_sdwa v2, v39, sext(v38) dst_sel:DWORD dst_unused:UNUSED_PAD src0_sel:DWORD src1_sel:BYTE_0
	v_and_b32_e32 v2, 7, v2
	v_add_u16_e32 v2, v38, v2
	s_ashr_i32 s3, s23, 31
	v_and_b32_e32 v2, 0xf8, v2
	s_lshr_b32 s3, s3, 29
	v_sub_u16_e32 v52, v38, v2
	s_add_i32 s23, s23, s3
	s_mul_i32 s2, s22, s11
	v_xor_b32_sdwa v51, v37, sext(v50) dst_sel:DWORD dst_unused:UNUSED_PAD src0_sel:DWORD src1_sel:WORD_0
	v_xor_b32_sdwa v61, v37, sext(v52) dst_sel:DWORD dst_unused:UNUSED_PAD src0_sel:DWORD src1_sel:BYTE_0
	s_ashr_i32 s23, s23, 3
	; sched_barrier mask(0x00000000)
	s_add_i32 s2, s7, s2
	s_lshl_b32 s2, s2, 1
	s_mov_b32 s3, 0x20000
	v_lshlrev_b32_e32 v10, 1, v3
	v_add_u32_e32 v11, s11, v3
	v_lshlrev_b32_e32 v12, 1, v11
	buffer_load_dwordx4 v[2:5], v10, s[0:3], 0 offen
	buffer_load_dwordx4 v[6:9], v12, s[0:3], 0 offen
	v_add_u32_e32 v10, s11, v11
	v_add_u32_e32 v40, s11, v10
	s_add_i32 s7, s7, s25
	v_lshlrev_b32_e32 v19, 1, v10
	v_lshlrev_b32_e32 v20, 1, v40
	s_lshl_b32 s6, s7, 1
	s_mov_b32 s7, s3
	v_lshlrev_b32_e32 v26, 1, v18
	v_add_u32_e32 v27, s12, v18
	buffer_load_dwordx4 v[10:13], v19, s[0:3], 0 offen
	buffer_load_dwordx4 v[14:17], v20, s[0:3], 0 offen
	v_lshlrev_b32_e32 v28, 1, v27
	buffer_load_dwordx4 v[18:21], v26, s[4:7], 0 offen
	buffer_load_dwordx4 v[22:25], v28, s[4:7], 0 offen
	v_add_u32_e32 v26, s12, v27
	v_lshlrev_b32_e32 v27, 1, v26
	v_add_u32_e32 v41, s12, v26
	buffer_load_dwordx4 v[26:29], v27, s[4:7], 0 offen
	v_lshlrev_b32_e32 v30, 1, v41
	buffer_load_dwordx4 v[30:33], v30, s[4:7], 0 offen
	v_or_b32_e32 v43, 1, v34
	v_or_b32_e32 v44, 2, v34
	;; [unrolled: 1-line block ×3, first 2 shown]
	v_xor_b32_e32 v43, v43, v54
	s_mul_i32 s14, s11, -3
	s_mul_i32 s24, s12, -3
	v_lshlrev_b32_e32 v42, 1, v35
	v_xor_b32_e32 v70, v44, v54
	v_xor_b32_e32 v34, v34, v54
	v_sub_u32_e32 v45, v43, v58
	v_or_b32_e32 v44, 0x4000, v42
	v_sub_u32_e32 v43, v70, v43
	v_sub_u32_e32 v46, v34, v70
	;; [unrolled: 1-line block ×3, first 2 shown]
	v_add3_u32 v34, s14, 64, v40
	v_add3_u32 v40, s24, 64, v41
	v_lshlrev_b32_e32 v41, 4, v45
	v_lshlrev_b32_e32 v163, 3, v45
	;; [unrolled: 1-line block ×3, first 2 shown]
	v_add_u32_e32 v47, v42, v41
	v_add_u32_e32 v41, v44, v41
	v_lshlrev_b32_e32 v44, 1, v34
	v_add_u32_e32 v34, s11, v34
	v_add_u32_e32 v165, 64, v164
	;; [unrolled: 1-line block ×3, first 2 shown]
	v_lshlrev_b32_e32 v48, 1, v40
	v_add_u32_e32 v40, s12, v40
	v_lshlrev_b32_e32 v53, 1, v34
	v_add_u32_e32 v34, s11, v34
	v_add3_u32 v35, v166, v35, v165
	v_lshlrev_b32_e32 v62, 1, v40
	v_add_u32_e32 v40, s12, v40
	buffer_load_dwordx4 v[134:137], v44, s[0:3], 0 offen
	buffer_load_dwordx4 v[98:101], v53, s[0:3], 0 offen
	v_lshlrev_b32_e32 v44, 1, v34
	v_lshlrev_b32_e32 v45, 4, v46
	v_lshl_add_u32 v72, v46, 3, v35
	v_add_lshl_u32 v34, v34, s11, 1
	buffer_load_dwordx4 v[106:109], v48, s[4:7], 0 offen
	buffer_load_dwordx4 v[102:105], v62, s[4:7], 0 offen
	v_lshlrev_b32_e32 v46, 1, v40
	v_add_lshl_u32 v40, v40, s12, 1
	buffer_load_dwordx4 v[110:113], v44, s[0:3], 0 offen
	buffer_load_dwordx4 v[114:117], v34, s[0:3], 0 offen
	;; [unrolled: 1-line block ×4, first 2 shown]
	v_lshlrev_b32_e32 v43, 4, v43
	v_add3_u32 v49, v47, s20, v43
	v_add3_u32 v43, v41, s20, v43
	;; [unrolled: 1-line block ×3, first 2 shown]
	s_movk_i32 s14, 0xff80
	s_waitcnt vmcnt(15)
	ds_write_b128 v42, v[2:5]
	s_waitcnt vmcnt(14)
	ds_write_b128 v47, v[6:9] offset:128
	s_waitcnt vmcnt(13)
	ds_write_b128 v49, v[10:13] offset:128
	;; [unrolled: 2-line block ×6, first 2 shown]
	v_add_u16_e32 v3, 32, v36
	v_ashrrev_i16_e32 v4, 15, v3
	v_lshrrev_b16_e32 v4, 13, v4
	v_add_u16_e32 v4, v3, v4
	v_and_b32_e32 v4, -8, v4
	v_add_u16_e32 v7, 32, v38
	v_sub_u16_e32 v3, v3, v4
	v_lshrrev_b16_sdwa v8, v39, sext(v7) dst_sel:DWORD dst_unused:UNUSED_PAD src0_sel:DWORD src1_sel:BYTE_0
	v_add3_u32 v2, v43, s20, v45
	v_xor_b32_sdwa v4, v37, sext(v3) dst_sel:DWORD dst_unused:UNUSED_PAD src0_sel:DWORD src1_sel:WORD_0
	v_and_b32_e32 v8, 7, v8
	s_waitcnt vmcnt(8)
	ds_write_b128 v2, v[30:33] offset:128
	v_lshlrev_b32_e32 v2, 7, v36
	v_sub_u32_e32 v4, v4, v51
	v_add_u16_e32 v8, v7, v8
	v_lshl_add_u32 v167, v51, 4, v2
	v_lshlrev_b32_e32 v4, 4, v4
	v_and_b32_e32 v8, 0xf8, v8
	v_add_u32_e32 v168, v167, v4
	v_xor_b32_e32 v4, v37, v54
	v_sub_u16_e32 v7, v7, v8
	v_sub_u32_e32 v5, v4, v51
	v_lshlrev_b32_e32 v6, 7, v38
	v_xor_b32_sdwa v8, v37, sext(v7) dst_sel:DWORD dst_unused:UNUSED_PAD src0_sel:DWORD src1_sel:BYTE_0
	v_lshl_add_u32 v169, v5, 4, v167
	v_lshl_add_u32 v5, v61, 4, v6
	v_sub_u32_e32 v8, v8, v61
	v_add_u32_e32 v170, 0x4000, v5
	v_lshlrev_b32_e32 v8, 4, v8
	v_add_u32_e32 v171, v170, v8
	v_sub_u32_e32 v4, v4, v61
	v_or_b32_e32 v8, 1, v37
	v_lshl_add_u32 v172, v4, 4, v170
	v_xor_b32_sdwa v4, v8, sext(v50) dst_sel:DWORD dst_unused:UNUSED_PAD src0_sel:DWORD src1_sel:WORD_0
	v_lshl_add_u32 v173, v4, 4, v2
	v_xor_b32_sdwa v2, v8, sext(v3) dst_sel:DWORD dst_unused:UNUSED_PAD src0_sel:DWORD src1_sel:WORD_0
	v_sub_u32_e32 v2, v2, v51
	v_xor_b32_sdwa v9, v8, sext(v52) dst_sel:DWORD dst_unused:UNUSED_PAD src0_sel:DWORD src1_sel:BYTE_0
	v_lshlrev_b32_e32 v2, 4, v2
	v_xor_b32_e32 v10, v8, v54
	v_lshl_add_u32 v176, v9, 4, v6
	v_xor_b32_sdwa v6, v8, sext(v7) dst_sel:DWORD dst_unused:UNUSED_PAD src0_sel:DWORD src1_sel:BYTE_0
	v_add_u32_e32 v174, v167, v2
	v_sub_u32_e32 v2, v10, v51
	v_sub_u32_e32 v6, v6, v61
	v_lshl_add_u32 v175, v2, 4, v167
	v_lshlrev_b32_e32 v6, 4, v6
	v_sub_u32_e32 v10, v10, v61
	s_waitcnt lgkmcnt(0)
	s_barrier
	ds_read_b128 v[82:85], v167
	ds_read_b128 v[46:49], v169 offset:8192
	ds_read_b128 v[42:45], v5 offset:16384
	;; [unrolled: 1-line block ×6, first 2 shown]
	ds_read_b128 v[66:69], v173
	ds_read_b128 v[30:33], v175 offset:8192
	ds_read_b128 v[2:5], v175 offset:12288
	v_add_u32_e32 v177, v170, v6
	ds_read_b128 v[50:53], v174 offset:4096
	ds_read_b128 v[6:9], v177 offset:4096
	v_lshl_add_u32 v178, v10, 4, v170
	ds_read_b128 v[10:13], v176 offset:16384
	ds_read_b128 v[22:25], v178 offset:8192
	;; [unrolled: 1-line block ×4, first 2 shown]
	v_lshlrev_b32_e32 v61, 3, v71
	v_add3_u32 v179, v72, v61, s14
	s_movk_i32 s14, 0x4000
	; sched_barrier mask(0x00000000)
	v_or_b32_e32 v55, 3, v55
	v_xor_b32_e32 v55, v55, v0
	v_and_b32_e32 v55, 7, v55
	v_sub_u32_e32 v61, v55, v70
	v_sub_u32_e32 v55, v58, v55
	v_mov_b32_e32 v58, 0xffffff40
	v_lshlrev_b32_e32 v183, 4, v54
	v_add_u32_e32 v54, 3, v59
	v_lshl_add_u32 v182, v55, 3, v58
	v_mul_lo_u32 v54, s12, v54
	v_mov_b32_e32 v55, 0x100
	v_lshl_add_u32 v184, v54, 1, v55
	v_add_u32_e32 v54, 2, v59
	v_mul_lo_u32 v54, s12, v54
	v_lshl_add_u32 v185, v54, 1, v55
	v_add_u32_e32 v54, s12, v60
	v_lshl_add_u32 v186, v54, 1, v55
	v_add_u32_e32 v54, 3, v56
	v_mul_lo_u32 v54, s11, v54
	v_lshl_add_u32 v188, v54, 1, v55
	v_add_u32_e32 v54, 2, v56
	v_mul_lo_u32 v54, s11, v54
	v_lshl_add_u32 v189, v54, 1, v55
	v_add_u32_e32 v54, s11, v57
	s_add_i32 s23, s23, -1
	v_lshlrev_b32_e32 v180, 3, v61
	v_lshl_add_u32 v190, v54, 1, v55
	v_mov_b32_e32 v54, 0
	s_max_i32 s23, s23, 1
	v_add_u32_e32 v181, 64, v180
	v_lshl_add_u32 v187, v60, 1, v55
	v_lshl_add_u32 v191, v57, 1, v55
	v_mov_b32_e32 v192, v179
	v_mov_b32_e32 v55, v54
	;; [unrolled: 1-line block ×64, first 2 shown]
.LBB2_11:                               ; =>This Inner Loop Header: Depth=1
	v_lshlrev_b32_e32 v193, 1, v192
	s_waitcnt lgkmcnt(0)
	s_barrier
	s_waitcnt vmcnt(7)
	ds_write_b128 v193, v[134:137]
	v_add_u32_e32 v134, v183, v191
	v_mfma_f32_16x16x16bf16_1k v[158:161], v[82:83], v[42:43], v[158:161]
	buffer_load_dwordx4 v[134:137], v134, s[0:3], 0 offen
	v_lshlrev_b32_e32 v194, 1, v163
	v_add_u32_e32 v193, v193, v194
	v_add3_u32 v192, v192, v166, v165
	v_add3_u32 v192, v192, v181, v182
	; sched_group_barrier mask(0x00000200) size(1) SyncID(0)
	; sched_group_barrier mask(0x00000008) size(1) SyncID(0)
	; sched_group_barrier mask(0x00000020) size(1) SyncID(0)
	v_mfma_f32_16x16x16bf16_1k v[154:157], v[82:83], v[26:27], v[154:157]
	v_mfma_f32_16x16x16bf16_1k v[150:153], v[82:83], v[38:39], v[150:153]
	;; [unrolled: 1-line block ×5, first 2 shown]
	s_waitcnt vmcnt(7)
	ds_write_b128 v193, v[98:101] offset:128
	; sched_group_barrier mask(0x00000008) size(5) SyncID(0)
	; sched_group_barrier mask(0x00000200) size(1) SyncID(0)
	v_mfma_f32_16x16x16bf16_1k v[146:149], v[82:83], v[34:35], v[146:149]
	v_add_u32_e32 v82, v183, v190
	buffer_load_dwordx4 v[98:101], v82, s[0:3], 0 offen
	; sched_group_barrier mask(0x00000008) size(1) SyncID(0)
	; sched_group_barrier mask(0x00000020) size(1) SyncID(0)
	v_mfma_f32_16x16x16bf16_1k v[142:145], v[62:63], v[42:43], v[142:145]
	v_mfma_f32_16x16x16bf16_1k v[118:121], v[62:63], v[26:27], v[118:121]
	;; [unrolled: 1-line block ×3, first 2 shown]
	s_nop 6
	v_lshlrev_b32_e32 v146, 1, v164
	v_add3_u32 v147, v193, s20, v146
	v_mfma_f32_16x16x16bf16_1k v[142:145], v[64:65], v[44:45], v[142:145]
	v_mfma_f32_16x16x16bf16_1k v[118:121], v[64:65], v[28:29], v[118:121]
	s_waitcnt vmcnt(5)
	ds_write_b128 v147, v[110:113] offset:128
	v_add_u32_e32 v110, v183, v189
	; sched_group_barrier mask(0x00000008) size(5) SyncID(0)
	; sched_group_barrier mask(0x00000200) size(1) SyncID(0)
	v_mfma_f32_16x16x16bf16_1k v[138:141], v[62:63], v[38:39], v[138:141]
	buffer_load_dwordx4 v[110:113], v110, s[0:3], 0 offen
	; sched_group_barrier mask(0x00000008) size(1) SyncID(0)
	; sched_group_barrier mask(0x00000020) size(1) SyncID(0)
	v_mfma_f32_16x16x16bf16_1k v[130:133], v[62:63], v[34:35], v[130:133]
	v_mfma_f32_16x16x16bf16_1k v[94:97], v[46:47], v[42:43], v[94:97]
	;; [unrolled: 1-line block ×4, first 2 shown]
	s_nop 7
	v_lshlrev_b32_e32 v130, 1, v180
	v_add3_u32 v131, v147, s20, v130
	v_mfma_f32_16x16x16bf16_1k v[94:97], v[48:49], v[44:45], v[94:97]
	s_waitcnt vmcnt(5)
	ds_write_b128 v131, v[114:117] offset:128
	v_add_u32_e32 v114, v183, v188
	v_lshlrev_b32_e32 v131, 1, v179
	v_add3_u32 v179, v179, v166, v165
	v_add3_u32 v179, v179, v181, v182
	; sched_group_barrier mask(0x00000008) size(5) SyncID(0)
	; sched_group_barrier mask(0x00000200) size(1) SyncID(0)
	v_mfma_f32_16x16x16bf16_1k v[90:93], v[46:47], v[26:27], v[90:93]
	buffer_load_dwordx4 v[114:117], v114, s[0:3], 0 offen
	; sched_group_barrier mask(0x00000008) size(1) SyncID(0)
	; sched_group_barrier mask(0x00000020) size(1) SyncID(0)
	v_mfma_f32_16x16x16bf16_1k v[86:89], v[46:47], v[38:39], v[86:89]
	v_mfma_f32_16x16x16bf16_1k v[78:81], v[46:47], v[34:35], v[78:81]
	;; [unrolled: 1-line block ×5, first 2 shown]
	ds_write_b128 v131, v[106:109] offset:16384
	; sched_group_barrier mask(0x00000008) size(5) SyncID(0)
	; sched_group_barrier mask(0x00000200) size(1) SyncID(0)
	v_mfma_f32_16x16x16bf16_1k v[46:49], v[18:19], v[42:43], v[74:77]
	v_add_u32_e32 v42, v183, v187
	buffer_load_dwordx4 v[106:109], v42, s[4:7], 0 offen
	; sched_group_barrier mask(0x00000008) size(1) SyncID(0)
	; sched_group_barrier mask(0x00000020) size(1) SyncID(0)
	v_mfma_f32_16x16x16bf16_1k v[58:61], v[18:19], v[26:27], v[58:61]
	v_mfma_f32_16x16x16bf16_1k v[70:73], v[18:19], v[38:39], v[70:73]
	;; [unrolled: 1-line block ×3, first 2 shown]
	s_nop 6
	v_add3_u32 v46, v131, s14, v194
	v_mfma_f32_16x16x16bf16_1k v[58:61], v[20:21], v[28:29], v[58:61]
	v_mfma_f32_16x16x16bf16_1k v[70:73], v[20:21], v[40:41], v[70:73]
	ds_write_b128 v46, v[102:105] offset:128
	; sched_group_barrier mask(0x00000008) size(5) SyncID(0)
	; sched_group_barrier mask(0x00000200) size(1) SyncID(0)
	v_mfma_f32_16x16x16bf16_1k v[26:29], v[18:19], v[34:35], v[54:57]
	v_add_u32_e32 v18, v183, v186
	buffer_load_dwordx4 v[102:105], v18, s[4:7], 0 offen
	; sched_group_barrier mask(0x00000008) size(1) SyncID(0)
	; sched_group_barrier mask(0x00000020) size(1) SyncID(0)
	v_mfma_f32_16x16x16bf16_1k v[38:41], v[66:67], v[10:11], v[158:161]
	v_mfma_f32_16x16x16bf16_1k v[42:45], v[66:67], v[6:7], v[154:157]
	;; [unrolled: 1-line block ×4, first 2 shown]
	s_nop 5
	v_add_u32_e32 v26, v183, v185
	s_nop 0
	v_add3_u32 v38, v46, s20, v146
	v_mfma_f32_16x16x16bf16_1k v[154:157], v[68:69], v[8:9], v[42:45]
	s_waitcnt vmcnt(7)
	ds_write_b128 v38, v[126:129] offset:128
	; sched_group_barrier mask(0x00000008) size(5) SyncID(0)
	; sched_group_barrier mask(0x00000200) size(1) SyncID(0)
	v_mfma_f32_16x16x16bf16_1k v[18:21], v[66:67], v[22:23], v[150:153]
	buffer_load_dwordx4 v[126:129], v26, s[4:7], 0 offen
	; sched_group_barrier mask(0x00000008) size(1) SyncID(0)
	; sched_group_barrier mask(0x00000020) size(1) SyncID(0)
	v_mfma_f32_16x16x16bf16_1k v[26:29], v[66:67], v[14:15], v[82:85]
	v_mfma_f32_16x16x16bf16_1k v[34:37], v[50:51], v[10:11], v[142:145]
	;; [unrolled: 1-line block ×4, first 2 shown]
	s_nop 5
	v_add3_u32 v18, v38, s20, v130
	s_nop 0
	v_add_u32_e32 v26, v183, v184
	v_mfma_f32_16x16x16bf16_1k v[142:145], v[52:53], v[12:13], v[34:37]
	s_waitcnt vmcnt(7)
	ds_write_b128 v18, v[122:125] offset:128
	; sched_group_barrier mask(0x00000008) size(5) SyncID(0)
	; sched_group_barrier mask(0x00000200) size(1) SyncID(0)
	v_mfma_f32_16x16x16bf16_1k v[18:21], v[50:51], v[6:7], v[118:121]
	buffer_load_dwordx4 v[122:125], v26, s[4:7], 0 offen
	s_waitcnt lgkmcnt(0)
	s_barrier
	; sched_group_barrier mask(0x00000008) size(1) SyncID(0)
	; sched_group_barrier mask(0x00000020) size(1) SyncID(0)
	v_mfma_f32_16x16x16bf16_1k v[26:29], v[50:51], v[22:23], v[138:141]
	v_mfma_f32_16x16x16bf16_1k v[34:37], v[50:51], v[14:15], v[62:65]
	;; [unrolled: 1-line block ×5, first 2 shown]
	ds_read_b128 v[82:85], v167
	; sched_group_barrier mask(0x00000008) size(5) SyncID(0)
	; sched_group_barrier mask(0x00000100) size(1) SyncID(0)
	v_mfma_f32_16x16x16bf16_1k v[18:21], v[30:31], v[10:11], v[94:97]
	s_nop 1
	ds_read_b128 v[62:65], v168 offset:4096
	; sched_group_barrier mask(0x00000008) size(1) SyncID(0)
	; sched_group_barrier mask(0x00000100) size(1) SyncID(0)
	v_mfma_f32_16x16x16bf16_1k v[94:97], v[32:33], v[12:13], v[18:21]
	ds_read_b128 v[46:49], v169 offset:8192
	; sched_group_barrier mask(0x00000008) size(1) SyncID(0)
	; sched_group_barrier mask(0x00000100) size(1) SyncID(0)
	v_mfma_f32_16x16x16bf16_1k v[26:29], v[30:31], v[6:7], v[90:93]
	s_nop 4
	ds_read_b128 v[18:21], v169 offset:12288
	; sched_group_barrier mask(0x00000008) size(1) SyncID(0)
	; sched_group_barrier mask(0x00000100) size(1) SyncID(0)
	v_mfma_f32_16x16x16bf16_1k v[90:93], v[32:33], v[8:9], v[26:29]
	ds_read_b128 v[42:45], v170
	; sched_group_barrier mask(0x00000008) size(1) SyncID(0)
	; sched_group_barrier mask(0x00000100) size(1) SyncID(0)
	v_mfma_f32_16x16x16bf16_1k v[34:37], v[30:31], v[22:23], v[86:89]
	s_nop 4
	ds_read_b128 v[26:29], v171 offset:4096
	; sched_group_barrier mask(0x00000008) size(1) SyncID(0)
	; sched_group_barrier mask(0x00000100) size(1) SyncID(0)
	v_mfma_f32_16x16x16bf16_1k v[86:89], v[32:33], v[24:25], v[34:37]
	ds_read_b128 v[38:41], v172 offset:8192
	; sched_group_barrier mask(0x00000008) size(1) SyncID(0)
	; sched_group_barrier mask(0x00000100) size(1) SyncID(0)
	v_mfma_f32_16x16x16bf16_1k v[50:53], v[30:31], v[14:15], v[78:81]
	s_nop 4
	ds_read_b128 v[34:37], v172 offset:12288
	; sched_group_barrier mask(0x00000008) size(1) SyncID(0)
	; sched_group_barrier mask(0x00000100) size(1) SyncID(0)
	v_mfma_f32_16x16x16bf16_1k v[78:81], v[32:33], v[16:17], v[50:53]
	ds_read_b128 v[66:69], v173
	; sched_group_barrier mask(0x00000008) size(1) SyncID(0)
	; sched_group_barrier mask(0x00000100) size(1) SyncID(0)
	v_mfma_f32_16x16x16bf16_1k v[30:33], v[2:3], v[10:11], v[74:77]
	s_nop 4
	ds_read_b128 v[50:53], v174 offset:4096
	; sched_group_barrier mask(0x00000008) size(1) SyncID(0)
	; sched_group_barrier mask(0x00000100) size(1) SyncID(0)
	v_mfma_f32_16x16x16bf16_1k v[74:77], v[4:5], v[12:13], v[30:33]
	; sched_group_barrier mask(0x00000008) size(1) SyncID(0)
	s_nop 6
	ds_read_b128 v[30:33], v175 offset:8192
	v_mfma_f32_16x16x16bf16_1k v[58:61], v[2:3], v[6:7], v[58:61]
	ds_read_b128 v[10:13], v176 offset:16384
	; sched_group_barrier mask(0x00000100) size(1) SyncID(0)
	; sched_group_barrier mask(0x00000008) size(1) SyncID(0)
	;; [unrolled: 1-line block ×3, first 2 shown]
	v_mfma_f32_16x16x16bf16_1k v[58:61], v[4:5], v[8:9], v[58:61]
	ds_read_b128 v[6:9], v177 offset:4096
	; sched_group_barrier mask(0x00000008) size(1) SyncID(0)
	; sched_group_barrier mask(0x00000100) size(1) SyncID(0)
	v_mfma_f32_16x16x16bf16_1k v[70:73], v[2:3], v[22:23], v[70:73]
	; sched_group_barrier mask(0x00000008) size(1) SyncID(0)
	v_mfma_f32_16x16x16bf16_1k v[54:57], v[2:3], v[14:15], v[54:57]
	v_mfma_f32_16x16x16bf16_1k v[54:57], v[4:5], v[16:17], v[54:57]
	;; [unrolled: 1-line block ×3, first 2 shown]
	ds_read_b128 v[2:5], v175 offset:12288
	ds_read_b128 v[22:25], v178 offset:8192
	;; [unrolled: 1-line block ×3, first 2 shown]
	; sched_group_barrier mask(0x00000100) size(1) SyncID(0)
	; sched_group_barrier mask(0x00000008) size(1) SyncID(0)
	;; [unrolled: 1-line block ×6, first 2 shown]
	; sched_barrier mask(0x00000000)
	s_add_i32 s23, s23, -1
	v_add_u32_e32 v184, 0x80, v184
	v_add_u32_e32 v185, 0x80, v185
	;; [unrolled: 1-line block ×7, first 2 shown]
	s_cmp_lg_u32 s23, 0
	v_add_u32_e32 v191, 0x80, v191
	s_cbranch_scc1 .LBB2_11
; %bb.12:
	s_waitcnt vmcnt(6) lgkmcnt(11)
	v_mfma_f32_16x16x16bf16_1k v[98:101], v[82:83], v[42:43], v[158:161]
	s_waitcnt vmcnt(2)
	v_lshlrev_b32_e32 v102, 3, v0
	v_and_b32_e32 v103, 0x400, v102
	v_lshl_or_b32 v0, v0, 4, v0
	v_and_b32_e32 v111, 56, v102
	s_movk_i32 s6, 0x7fff
	v_and_b32_e32 v0, 0x30f, v0
	v_or3_b32 v106, v0, v103, v162
	v_mfma_f32_16x16x16bf16_1k v[98:101], v[84:85], v[44:45], v[98:101]
	v_mov_b32_e32 v0, 0x7fc0
	s_waitcnt lgkmcnt(0)
	s_barrier
	s_lshl_b64 s[0:1], s[18:19], 1
	s_add_u32 s16, s16, s0
	s_mul_i32 s22, s22, s13
	s_mul_hi_u32 s0, s21, s13
	v_mfma_f32_16x16x16bf16_1k v[98:101], v[66:67], v[10:11], v[98:101]
	v_lshl_or_b32 v114, s15, 7, v1
	v_or_b32_e32 v110, s10, v111
	s_addc_u32 s17, s17, s1
	s_add_i32 s4, s0, s22
	v_mad_u64_u32 v[112:113], s[0:1], v114, s13, v[110:111]
	v_cmp_gt_i32_e64 s[2:3], s8, v114
	v_mfma_f32_16x16x16bf16_1k v[98:101], v[68:69], v[12:13], v[98:101]
	s_add_i32 s0, s9, s4
	s_lshl_b32 s18, s0, 1
	s_mov_b32 s19, 0x20000
	s_lshl_b32 s7, s13, 5
	s_nop 6
	v_bfe_u32 v102, v98, 16, 1
	v_add3_u32 v102, v98, v102, s6
	v_lshrrev_b32_e32 v107, 16, v102
	v_mfma_f32_16x16x16bf16_1k v[102:105], v[82:83], v[26:27], v[154:157]
	v_cmp_o_f32_e32 vcc, v98, v98
	v_lshlrev_b32_e32 v98, 1, v106
	v_bfe_u32 v106, v99, 16, 1
	v_add3_u32 v106, v99, v106, s6
	v_cndmask_b32_e32 v107, v0, v107, vcc
	v_lshrrev_b32_e32 v106, 16, v106
	v_cmp_o_f32_e32 vcc, v99, v99
	v_mfma_f32_16x16x16bf16_1k v[102:105], v[84:85], v[28:29], v[102:105]
	v_cndmask_b32_e32 v99, v0, v106, vcc
	ds_write_b16 v98, v99 offset:128
	v_bfe_u32 v99, v100, 16, 1
	v_add3_u32 v99, v100, v99, s6
	v_lshrrev_b32_e32 v99, 16, v99
	v_cmp_o_f32_e32 vcc, v100, v100
	v_cndmask_b32_e32 v99, v0, v99, vcc
	v_mfma_f32_16x16x16bf16_1k v[102:105], v[66:67], v[6:7], v[102:105]
	ds_write_b16 v98, v99 offset:256
	v_bfe_u32 v99, v101, 16, 1
	v_add3_u32 v99, v101, v99, s6
	v_cmp_o_f32_e32 vcc, v101, v101
	ds_write_b16 v98, v107
	v_lshrrev_b32_e32 v99, 16, v99
	v_cndmask_b32_e32 v99, v0, v99, vcc
	v_mfma_f32_16x16x16bf16_1k v[100:103], v[68:69], v[8:9], v[102:105]
	ds_write_b16 v98, v99 offset:384
	v_mfma_f32_16x16x16bf16_1k v[104:107], v[82:83], v[38:39], v[150:153]
	s_nop 7
	s_nop 0
	v_bfe_u32 v99, v103, 16, 1
	v_add3_u32 v99, v103, v99, s6
	v_lshrrev_b32_e32 v99, 16, v99
	v_cmp_o_f32_e32 vcc, v103, v103
	v_cndmask_b32_e32 v99, v0, v99, vcc
	ds_write_b16 v98, v99 offset:448
	v_bfe_u32 v99, v102, 16, 1
	v_add3_u32 v99, v102, v99, s6
	v_cmp_o_f32_e32 vcc, v102, v102
	v_mfma_f32_16x16x16bf16_1k v[102:105], v[84:85], v[40:41], v[104:107]
	v_lshrrev_b32_e32 v99, 16, v99
	v_cndmask_b32_e32 v99, v0, v99, vcc
	ds_write_b16 v98, v99 offset:320
	v_bfe_u32 v99, v101, 16, 1
	v_add3_u32 v99, v101, v99, s6
	v_lshrrev_b32_e32 v99, 16, v99
	v_cmp_o_f32_e32 vcc, v101, v101
	v_cndmask_b32_e32 v99, v0, v99, vcc
	ds_write_b16 v98, v99 offset:192
	v_bfe_u32 v99, v100, 16, 1
	v_add3_u32 v99, v100, v99, s6
	v_cmp_o_f32_e32 vcc, v100, v100
	v_mfma_f32_16x16x16bf16_1k v[100:103], v[66:67], v[22:23], v[102:105]
	v_lshrrev_b32_e32 v99, 16, v99
	v_mfma_f32_16x16x16bf16_1k v[106:109], v[82:83], v[34:35], v[146:149]
	v_cndmask_b32_e32 v82, v0, v99, vcc
	ds_write_b16 v98, v82 offset:64
	v_lshlrev_b32_e32 v82, 1, v111
	v_lshl_or_b32 v1, v1, 7, v82
	s_waitcnt lgkmcnt(0)
	s_barrier
	v_cmp_gt_i32_e32 vcc, s9, v110
	v_mfma_f32_16x16x16bf16_1k v[100:103], v[68:69], v[24:25], v[100:103]
	v_bfrev_b32_e32 v99, 1
	s_and_b64 s[0:1], s[2:3], vcc
	v_cndmask_b32_e64 v104, v99, 0, s[0:1]
	v_lshl_add_u32 v104, v112, 1, v104
	v_mfma_f32_16x16x16bf16_1k v[82:85], v[84:85], v[36:37], v[106:109]
	s_nop 5
	v_cmp_o_f32_e64 s[0:1], v100, v100
	ds_read_b128 v[106:109], v1
	v_mfma_f32_16x16x16bf16_1k v[82:85], v[66:67], v[14:15], v[82:85]
	s_waitcnt lgkmcnt(0)
	buffer_store_dwordx4 v[106:109], v104, s[16:19], 0 offen
	v_bfe_u32 v104, v100, 16, 1
	v_add3_u32 v104, v100, v104, s6
	v_lshrrev_b32_e32 v104, 16, v104
	v_cndmask_b32_e64 v100, v0, v104, s[0:1]
	s_waitcnt lgkmcnt(0)
	s_barrier
	ds_write_b16 v98, v100
	v_bfe_u32 v100, v101, 16, 1
	v_add3_u32 v100, v101, v100, s6
	v_lshrrev_b32_e32 v100, 16, v100
	v_cmp_o_f32_e64 s[0:1], v101, v101
	v_cndmask_b32_e64 v100, v0, v100, s[0:1]
	ds_write_b16 v98, v100 offset:128
	v_bfe_u32 v100, v102, 16, 1
	v_add3_u32 v66, v102, v100, s6
	v_lshrrev_b32_e32 v66, 16, v66
	v_cmp_o_f32_e64 s[0:1], v102, v102
	v_cndmask_b32_e64 v66, v0, v66, s[0:1]
	ds_write_b16 v98, v66 offset:256
	v_bfe_u32 v66, v103, 16, 1
	v_add3_u32 v100, v103, v66, s6
	v_mfma_f32_16x16x16bf16_1k v[66:69], v[68:69], v[16:17], v[82:85]
	v_cmp_o_f32_e64 s[0:1], v103, v103
	v_or_b32_e32 v108, 64, v110
	v_add_u32_e32 v109, 64, v112
	s_nop 3
	v_lshrrev_b32_e32 v82, 16, v100
	v_cndmask_b32_e64 v82, v0, v82, s[0:1]
	ds_write_b16 v98, v82 offset:384
	s_nop 0
	v_bfe_u32 v82, v69, 16, 1
	v_add3_u32 v82, v69, v82, s6
	v_lshrrev_b32_e32 v100, 16, v82
	v_cmp_o_f32_e64 s[0:1], v69, v69
	v_cndmask_b32_e64 v69, v0, v100, s[0:1]
	v_mfma_f32_16x16x16bf16_1k v[100:103], v[62:63], v[38:39], v[138:141]
	ds_write_b16 v98, v69 offset:448
	v_bfe_u32 v69, v68, 16, 1
	v_add3_u32 v69, v68, v69, s6
	v_lshrrev_b32_e32 v69, 16, v69
	v_cmp_o_f32_e64 s[0:1], v68, v68
	v_cndmask_b32_e64 v68, v0, v69, s[0:1]
	ds_write_b16 v98, v68 offset:320
	v_bfe_u32 v68, v67, 16, 1
	v_mfma_f32_16x16x16bf16_1k v[100:103], v[64:65], v[40:41], v[100:103]
	v_add3_u32 v68, v67, v68, s6
	v_lshrrev_b32_e32 v68, 16, v68
	v_cmp_o_f32_e64 s[0:1], v67, v67
	v_cndmask_b32_e64 v67, v0, v68, s[0:1]
	ds_write_b16 v98, v67 offset:192
	v_bfe_u32 v67, v66, 16, 1
	v_add3_u32 v67, v66, v67, s6
	v_lshrrev_b32_e32 v67, 16, v67
	v_cmp_o_f32_e64 s[0:1], v66, v66
	v_cndmask_b32_e64 v66, v0, v67, s[0:1]
	ds_write_b16 v98, v66 offset:64
	v_mfma_f32_16x16x16bf16_1k v[66:69], v[50:51], v[22:23], v[100:103]
	s_waitcnt lgkmcnt(0)
	s_barrier
	v_cmp_gt_i32_e64 s[0:1], s9, v108
	s_and_b64 s[2:3], s[2:3], s[0:1]
	v_mfma_f32_16x16x16bf16_1k v[104:107], v[62:63], v[42:43], v[142:145]
	s_nop 1
	ds_read_b128 v[100:103], v1
	v_mfma_f32_16x16x16bf16_1k v[66:69], v[52:53], v[24:25], v[66:69]
	v_mfma_f32_16x16x16bf16_1k v[82:85], v[64:65], v[44:45], v[104:107]
	s_nop 6
	v_cndmask_b32_e64 v104, v99, 0, s[2:3]
	v_lshl_add_u32 v104, v109, 1, v104
	s_waitcnt lgkmcnt(0)
	buffer_store_dwordx4 v[100:103], v104, s[16:19], 0 offen
	v_cmp_o_f32_e64 s[2:3], v66, v66
	v_bfe_u32 v100, v66, 16, 1
	v_add3_u32 v106, v66, v100, s6
	v_mfma_f32_16x16x16bf16_1k v[100:103], v[62:63], v[34:35], v[130:133]
	v_lshrrev_b32_e32 v106, 16, v106
	v_cndmask_b32_e64 v66, v0, v106, s[2:3]
	s_waitcnt lgkmcnt(0)
	s_barrier
	ds_write_b16 v98, v66
	v_bfe_u32 v66, v67, 16, 1
	v_add3_u32 v66, v67, v66, s6
	v_mfma_f32_16x16x16bf16_1k v[100:103], v[64:65], v[36:37], v[100:103]
	v_lshrrev_b32_e32 v66, 16, v66
	v_cmp_o_f32_e64 s[2:3], v67, v67
	v_cndmask_b32_e64 v66, v0, v66, s[2:3]
	ds_write_b16 v98, v66 offset:128
	v_bfe_u32 v66, v68, 16, 1
	v_add3_u32 v66, v68, v66, s6
	v_lshrrev_b32_e32 v66, 16, v66
	v_mfma_f32_16x16x16bf16_1k v[100:103], v[50:51], v[14:15], v[100:103]
	v_cmp_o_f32_e64 s[2:3], v68, v68
	v_cndmask_b32_e64 v66, v0, v66, s[2:3]
	ds_write_b16 v98, v66 offset:256
	v_bfe_u32 v66, v69, 16, 1
	v_add3_u32 v66, v69, v66, s6
	v_lshrrev_b32_e32 v66, 16, v66
	v_cmp_o_f32_e64 s[2:3], v69, v69
	v_cndmask_b32_e64 v66, v0, v66, s[2:3]
	ds_write_b16 v98, v66 offset:384
	v_mfma_f32_16x16x16bf16_1k v[66:69], v[52:53], v[16:17], v[100:103]
	v_or_b32_e32 v104, 32, v114
	v_add_u32_e32 v105, s7, v109
	v_mfma_f32_16x16x16bf16_1k v[82:85], v[50:51], v[10:11], v[82:85]
	s_nop 7
	v_bfe_u32 v100, v69, 16, 1
	v_add3_u32 v100, v69, v100, s6
	v_lshrrev_b32_e32 v100, 16, v100
	v_cmp_o_f32_e64 s[2:3], v69, v69
	v_cndmask_b32_e64 v69, v0, v100, s[2:3]
	ds_write_b16 v98, v69 offset:448
	v_bfe_u32 v69, v68, 16, 1
	v_mfma_f32_16x16x16bf16_1k v[100:103], v[62:63], v[26:27], v[118:121]
	v_add3_u32 v62, v68, v69, s6
	v_lshrrev_b32_e32 v62, 16, v62
	v_cmp_o_f32_e64 s[2:3], v68, v68
	v_cndmask_b32_e64 v62, v0, v62, s[2:3]
	ds_write_b16 v98, v62 offset:320
	v_bfe_u32 v62, v67, 16, 1
	v_add3_u32 v68, v67, v62, s6
	v_lshrrev_b32_e32 v68, 16, v68
	v_cmp_o_f32_e64 s[2:3], v67, v67
	v_cndmask_b32_e64 v67, v0, v68, s[2:3]
	ds_write_b16 v98, v67 offset:192
	v_bfe_u32 v67, v66, 16, 1
	v_mfma_f32_16x16x16bf16_1k v[82:85], v[52:53], v[12:13], v[82:85]
	v_add3_u32 v67, v66, v67, s6
	v_lshrrev_b32_e32 v67, 16, v67
	v_cmp_o_f32_e64 s[2:3], v66, v66
	v_cndmask_b32_e64 v66, v0, v67, s[2:3]
	ds_write_b16 v98, v66 offset:64
	s_waitcnt lgkmcnt(0)
	s_barrier
	ds_read_b128 v[66:69], v1
	v_cmp_gt_i32_e64 s[2:3], s8, v104
	s_and_b64 s[4:5], s[2:3], s[0:1]
	v_mfma_f32_16x16x16bf16_1k v[62:65], v[64:65], v[28:29], v[100:103]
	s_and_b64 s[2:3], vcc, s[2:3]
	s_nop 5
	v_cndmask_b32_e64 v100, v99, 0, s[4:5]
	v_lshl_add_u32 v100, v105, 1, v100
	v_bfe_u32 v101, v82, 16, 1
	s_waitcnt lgkmcnt(0)
	buffer_store_dwordx4 v[66:69], v100, s[16:19], 0 offen
	v_cmp_o_f32_e64 s[4:5], v82, v82
	v_mfma_f32_16x16x16bf16_1k v[66:69], v[46:47], v[42:43], v[94:97]
	s_waitcnt lgkmcnt(0)
	s_barrier
	v_add_u32_e32 v100, s7, v112
	s_nop 3
	v_add3_u32 v94, v82, v101, s6
	v_lshrrev_b32_e32 v94, 16, v94
	v_cndmask_b32_e64 v82, v0, v94, s[4:5]
	ds_write_b16 v98, v82
	v_bfe_u32 v82, v83, 16, 1
	v_add3_u32 v82, v83, v82, s6
	v_lshrrev_b32_e32 v82, 16, v82
	v_cmp_o_f32_e64 s[4:5], v83, v83
	v_cndmask_b32_e64 v82, v0, v82, s[4:5]
	v_mfma_f32_16x16x16bf16_1k v[62:65], v[50:51], v[6:7], v[62:65]
	ds_write_b16 v98, v82 offset:128
	v_bfe_u32 v82, v84, 16, 1
	v_add3_u32 v82, v84, v82, s6
	v_lshrrev_b32_e32 v82, 16, v82
	v_cmp_o_f32_e64 s[4:5], v84, v84
	v_cndmask_b32_e64 v50, v0, v82, s[4:5]
	ds_write_b16 v98, v50 offset:256
	v_bfe_u32 v50, v85, 16, 1
	v_add3_u32 v50, v85, v50, s6
	v_lshrrev_b32_e32 v50, 16, v50
	v_cmp_o_f32_e64 s[4:5], v85, v85
	v_cndmask_b32_e64 v82, v0, v50, s[4:5]
	v_mfma_f32_16x16x16bf16_1k v[50:53], v[52:53], v[8:9], v[62:65]
	ds_write_b16 v98, v82 offset:384
	v_mfma_f32_16x16x16bf16_1k v[66:69], v[48:49], v[44:45], v[66:69]
	s_nop 7
	s_nop 0
	v_bfe_u32 v62, v53, 16, 1
	v_add3_u32 v62, v53, v62, s6
	v_lshrrev_b32_e32 v62, 16, v62
	v_cmp_o_f32_e64 s[4:5], v53, v53
	v_cndmask_b32_e64 v53, v0, v62, s[4:5]
	ds_write_b16 v98, v53 offset:448
	v_bfe_u32 v53, v52, 16, 1
	v_add3_u32 v53, v52, v53, s6
	v_lshrrev_b32_e32 v53, 16, v53
	v_cmp_o_f32_e64 s[4:5], v52, v52
	v_cndmask_b32_e64 v52, v0, v53, s[4:5]
	ds_write_b16 v98, v52 offset:320
	;; [unrolled: 6-line block ×3, first 2 shown]
	v_bfe_u32 v51, v50, 16, 1
	v_mfma_f32_16x16x16bf16_1k v[62:65], v[46:47], v[26:27], v[90:93]
	v_add3_u32 v51, v50, v51, s6
	v_lshrrev_b32_e32 v51, 16, v51
	v_cmp_o_f32_e64 s[4:5], v50, v50
	v_cndmask_b32_e64 v50, v0, v51, s[4:5]
	ds_write_b16 v98, v50 offset:64
	s_waitcnt lgkmcnt(0)
	s_barrier
	v_mfma_f32_16x16x16bf16_1k v[66:69], v[30:31], v[10:11], v[66:69]
	ds_read_b128 v[50:53], v1
	v_mfma_f32_16x16x16bf16_1k v[82:85], v[46:47], v[38:39], v[86:89]
	s_nop 6
	v_cndmask_b32_e64 v86, v99, 0, s[2:3]
	v_lshl_add_u32 v86, v100, 1, v86
	v_mfma_f32_16x16x16bf16_1k v[62:65], v[48:49], v[28:29], v[62:65]
	s_waitcnt lgkmcnt(0)
	buffer_store_dwordx4 v[50:53], v86, s[16:19], 0 offen
	s_waitcnt lgkmcnt(0)
	s_barrier
	v_or_b32_e32 v86, 64, v114
	v_add_u32_e32 v87, s7, v100
	v_mfma_f32_16x16x16bf16_1k v[50:53], v[32:33], v[12:13], v[66:69]
	v_mfma_f32_16x16x16bf16_1k v[62:65], v[30:31], v[6:7], v[62:65]
	s_nop 7
	s_nop 1
	v_bfe_u32 v66, v50, 16, 1
	v_add3_u32 v66, v50, v66, s6
	v_lshrrev_b32_e32 v66, 16, v66
	v_cmp_o_f32_e64 s[2:3], v50, v50
	v_cndmask_b32_e64 v50, v0, v66, s[2:3]
	ds_write_b16 v98, v50
	v_bfe_u32 v50, v51, 16, 1
	v_add3_u32 v50, v51, v50, s6
	v_lshrrev_b32_e32 v50, 16, v50
	v_cmp_o_f32_e64 s[2:3], v51, v51
	v_cndmask_b32_e64 v50, v0, v50, s[2:3]
	ds_write_b16 v98, v50 offset:128
	v_bfe_u32 v50, v52, 16, 1
	v_mfma_f32_16x16x16bf16_1k v[62:65], v[32:33], v[8:9], v[62:65]
	v_add3_u32 v50, v52, v50, s6
	v_lshrrev_b32_e32 v50, 16, v50
	v_cmp_o_f32_e64 s[2:3], v52, v52
	v_cndmask_b32_e64 v50, v0, v50, s[2:3]
	ds_write_b16 v98, v50 offset:256
	v_bfe_u32 v50, v53, 16, 1
	v_add3_u32 v50, v53, v50, s6
	v_lshrrev_b32_e32 v50, 16, v50
	v_cmp_o_f32_e64 s[2:3], v53, v53
	v_cndmask_b32_e64 v50, v0, v50, s[2:3]
	ds_write_b16 v98, v50 offset:384
	v_bfe_u32 v50, v65, 16, 1
	v_add3_u32 v50, v65, v50, s6
	v_lshrrev_b32_e32 v50, 16, v50
	v_cmp_o_f32_e64 s[2:3], v65, v65
	v_cndmask_b32_e64 v65, v0, v50, s[2:3]
	v_mfma_f32_16x16x16bf16_1k v[50:53], v[46:47], v[34:35], v[78:81]
	v_bfe_u32 v46, v64, 16, 1
	v_add3_u32 v46, v64, v46, s6
	v_lshrrev_b32_e32 v46, 16, v46
	v_cmp_o_f32_e64 s[2:3], v64, v64
	v_cndmask_b32_e64 v46, v0, v46, s[2:3]
	ds_write_b16 v98, v46 offset:320
	v_cmp_o_f32_e64 s[2:3], v63, v63
	v_mfma_f32_16x16x16bf16_1k v[66:69], v[48:49], v[40:41], v[82:85]
	ds_write_b16 v98, v65 offset:448
	v_mfma_f32_16x16x16bf16_1k v[46:49], v[48:49], v[36:37], v[50:53]
	s_nop 6
	v_bfe_u32 v50, v63, 16, 1
	v_add3_u32 v50, v63, v50, s6
	v_lshrrev_b32_e32 v50, 16, v50
	v_cndmask_b32_e64 v50, v0, v50, s[2:3]
	v_bfe_u32 v63, v62, 16, 1
	ds_write_b16 v98, v50 offset:192
	v_mfma_f32_16x16x16bf16_1k v[50:53], v[18:19], v[42:43], v[74:77]
	v_add3_u32 v42, v62, v63, s6
	v_cmp_o_f32_e64 s[2:3], v62, v62
	v_lshrrev_b32_e32 v42, 16, v42
	v_cndmask_b32_e64 v42, v0, v42, s[2:3]
	ds_write_b16 v98, v42 offset:64
	s_waitcnt lgkmcnt(0)
	s_barrier
	v_mfma_f32_16x16x16bf16_1k v[62:65], v[30:31], v[22:23], v[66:69]
	v_cmp_gt_i32_e64 s[2:3], s8, v86
	s_and_b64 s[4:5], vcc, s[2:3]
	v_cndmask_b32_e64 v42, v99, 0, s[4:5]
	v_lshl_add_u32 v42, v87, 1, v42
	s_and_b64 s[2:3], s[2:3], s[0:1]
	s_nop 1
	ds_read_b128 v[66:69], v1
	s_waitcnt lgkmcnt(0)
	buffer_store_dwordx4 v[66:69], v42, s[16:19], 0 offen
	v_mfma_f32_16x16x16bf16_1k v[62:65], v[32:33], v[24:25], v[62:65]
	s_waitcnt lgkmcnt(0)
	s_barrier
	v_mfma_f32_16x16x16bf16_1k v[46:49], v[30:31], v[14:15], v[46:49]
	s_nop 7
	v_bfe_u32 v42, v62, 16, 1
	v_add3_u32 v42, v62, v42, s6
	v_lshrrev_b32_e32 v42, 16, v42
	v_cmp_o_f32_e64 s[4:5], v62, v62
	v_cndmask_b32_e64 v42, v0, v42, s[4:5]
	ds_write_b16 v98, v42
	v_cmp_o_f32_e64 s[4:5], v63, v63
	v_mfma_f32_16x16x16bf16_1k v[42:45], v[20:21], v[44:45], v[50:53]
	s_nop 6
	v_bfe_u32 v50, v63, 16, 1
	v_add3_u32 v50, v63, v50, s6
	v_lshrrev_b32_e32 v50, 16, v50
	v_cndmask_b32_e64 v50, v0, v50, s[4:5]
	ds_write_b16 v98, v50 offset:128
	v_bfe_u32 v50, v64, 16, 1
	v_add3_u32 v30, v64, v50, s6
	v_lshrrev_b32_e32 v30, 16, v30
	v_cmp_o_f32_e64 s[4:5], v64, v64
	v_cndmask_b32_e64 v30, v0, v30, s[4:5]
	ds_write_b16 v98, v30 offset:256
	v_bfe_u32 v30, v65, 16, 1
	v_add3_u32 v50, v65, v30, s6
	v_mfma_f32_16x16x16bf16_1k v[30:33], v[32:33], v[16:17], v[46:49]
	v_cmp_o_f32_e64 s[4:5], v65, v65
	s_nop 5
	v_lshrrev_b32_e32 v46, 16, v50
	v_cndmask_b32_e64 v46, v0, v46, s[4:5]
	ds_write_b16 v98, v46 offset:384
	s_nop 0
	v_bfe_u32 v46, v33, 16, 1
	v_add3_u32 v46, v33, v46, s6
	v_lshrrev_b32_e32 v50, 16, v46
	v_mfma_f32_16x16x16bf16_1k v[46:49], v[18:19], v[38:39], v[70:73]
	v_cmp_o_f32_e64 s[4:5], v33, v33
	v_cndmask_b32_e64 v33, v0, v50, s[4:5]
	ds_write_b16 v98, v33 offset:448
	v_bfe_u32 v33, v32, 16, 1
	v_add3_u32 v33, v32, v33, s6
	v_lshrrev_b32_e32 v33, 16, v33
	v_cmp_o_f32_e64 s[4:5], v32, v32
	v_mfma_f32_16x16x16bf16_1k v[38:41], v[20:21], v[40:41], v[46:49]
	v_cndmask_b32_e64 v32, v0, v33, s[4:5]
	ds_write_b16 v98, v32 offset:320
	v_bfe_u32 v32, v31, 16, 1
	v_add3_u32 v32, v31, v32, s6
	v_lshrrev_b32_e32 v32, 16, v32
	v_cmp_o_f32_e64 s[4:5], v31, v31
	v_cndmask_b32_e64 v31, v0, v32, s[4:5]
	ds_write_b16 v98, v31 offset:192
	v_bfe_u32 v31, v30, 16, 1
	v_add3_u32 v31, v30, v31, s6
	v_mfma_f32_16x16x16bf16_1k v[38:41], v[2:3], v[22:23], v[38:41]
	v_lshrrev_b32_e32 v31, 16, v31
	v_cmp_o_f32_e64 s[4:5], v30, v30
	v_cndmask_b32_e64 v30, v0, v31, s[4:5]
	ds_write_b16 v98, v30 offset:64
	s_waitcnt lgkmcnt(0)
	s_barrier
	ds_read_b128 v[46:49], v1
	v_add_u32_e32 v30, 64, v87
	v_cndmask_b32_e64 v22, v99, 0, s[2:3]
	v_lshl_add_u32 v22, v30, 1, v22
	v_mfma_f32_16x16x16bf16_1k v[32:35], v[18:19], v[34:35], v[54:57]
	s_waitcnt lgkmcnt(0)
	buffer_store_dwordx4 v[46:49], v22, s[16:19], 0 offen
	s_waitcnt lgkmcnt(0)
	s_barrier
	v_mfma_f32_16x16x16bf16_1k v[22:25], v[4:5], v[24:25], v[38:41]
	s_nop 6
	v_add_u32_e32 v39, s7, v30
	s_nop 2
	v_bfe_u32 v30, v22, 16, 1
	v_add3_u32 v30, v22, v30, s6
	v_lshrrev_b32_e32 v40, 16, v30
	v_mfma_f32_16x16x16bf16_1k v[30:33], v[20:21], v[36:37], v[32:35]
	v_cmp_o_f32_e64 s[2:3], v22, v22
	v_cndmask_b32_e64 v22, v0, v40, s[2:3]
	ds_write_b16 v98, v22
	v_bfe_u32 v22, v23, 16, 1
	v_add3_u32 v22, v23, v22, s6
	v_lshrrev_b32_e32 v22, 16, v22
	v_cmp_o_f32_e64 s[2:3], v23, v23
	v_mfma_f32_16x16x16bf16_1k v[30:33], v[2:3], v[14:15], v[30:33]
	v_bfe_u32 v14, v24, 16, 1
	v_add3_u32 v14, v24, v14, s6
	v_cndmask_b32_e64 v22, v0, v22, s[2:3]
	v_lshrrev_b32_e32 v14, 16, v14
	v_cmp_o_f32_e64 s[2:3], v24, v24
	v_cndmask_b32_e64 v14, v0, v14, s[2:3]
	ds_write_b16 v98, v14 offset:256
	v_mfma_f32_16x16x16bf16_1k v[14:17], v[4:5], v[16:17], v[30:33]
	ds_write_b16 v98, v22 offset:128
	v_bfe_u32 v22, v25, 16, 1
	v_add3_u32 v22, v25, v22, s6
	v_lshrrev_b32_e32 v22, 16, v22
	v_cmp_o_f32_e64 s[2:3], v25, v25
	v_cndmask_b32_e64 v22, v0, v22, s[2:3]
	ds_write_b16 v98, v22 offset:384
	v_mfma_f32_16x16x16bf16_1k v[22:25], v[18:19], v[26:27], v[58:61]
	s_nop 2
	v_bfe_u32 v30, v17, 16, 1
	v_add3_u32 v18, v17, v30, s6
	v_lshrrev_b32_e32 v18, 16, v18
	v_cmp_o_f32_e64 s[2:3], v17, v17
	v_cndmask_b32_e64 v17, v0, v18, s[2:3]
	ds_write_b16 v98, v17 offset:448
	v_bfe_u32 v17, v16, 16, 1
	v_add3_u32 v17, v16, v17, s6
	v_lshrrev_b32_e32 v17, 16, v17
	v_cmp_o_f32_e64 s[2:3], v16, v16
	v_mfma_f32_16x16x16bf16_1k v[18:21], v[20:21], v[28:29], v[22:25]
	v_cndmask_b32_e64 v16, v0, v17, s[2:3]
	ds_write_b16 v98, v16 offset:320
	v_bfe_u32 v16, v15, 16, 1
	v_add3_u32 v16, v15, v16, s6
	v_lshrrev_b32_e32 v16, 16, v16
	v_cmp_o_f32_e64 s[2:3], v15, v15
	v_or_b32_e32 v38, 0x60, v114
	v_mfma_f32_16x16x16bf16_1k v[22:25], v[2:3], v[10:11], v[42:45]
	v_cndmask_b32_e64 v10, v0, v16, s[2:3]
	ds_write_b16 v98, v10 offset:192
	v_bfe_u32 v10, v14, 16, 1
	v_add3_u32 v10, v14, v10, s6
	v_lshrrev_b32_e32 v10, 16, v10
	v_cmp_o_f32_e64 s[2:3], v14, v14
	v_cndmask_b32_e64 v14, v0, v10, s[2:3]
	v_mfma_f32_16x16x16bf16_1k v[10:13], v[4:5], v[12:13], v[22:25]
	ds_write_b16 v98, v14 offset:64
	s_waitcnt lgkmcnt(0)
	s_barrier
	ds_read_b128 v[14:17], v1
	v_cmp_gt_i32_e64 s[2:3], s8, v38
	s_and_b64 s[0:1], s[2:3], s[0:1]
	s_nop 0
	v_cndmask_b32_e64 v22, v99, 0, s[0:1]
	v_mfma_f32_16x16x16bf16_1k v[18:21], v[2:3], v[6:7], v[18:21]
	v_lshl_add_u32 v2, v39, 1, v22
	s_waitcnt lgkmcnt(0)
	buffer_store_dwordx4 v[14:17], v2, s[16:19], 0 offen
	v_bfe_u32 v2, v10, 16, 1
	v_add3_u32 v2, v10, v2, s6
	v_lshrrev_b32_e32 v6, 16, v2
	v_cmp_o_f32_e64 s[0:1], v10, v10
	v_cndmask_b32_e64 v6, v0, v6, s[0:1]
	s_waitcnt lgkmcnt(0)
	s_barrier
	ds_write_b16 v98, v6
	v_bfe_u32 v6, v11, 16, 1
	v_add3_u32 v6, v11, v6, s6
	v_lshrrev_b32_e32 v6, 16, v6
	v_cmp_o_f32_e64 s[0:1], v11, v11
	v_cndmask_b32_e64 v6, v0, v6, s[0:1]
	v_mfma_f32_16x16x16bf16_1k v[2:5], v[4:5], v[8:9], v[18:21]
	ds_write_b16 v98, v6 offset:128
	v_bfe_u32 v6, v12, 16, 1
	v_add3_u32 v6, v12, v6, s6
	v_lshrrev_b32_e32 v6, 16, v6
	v_cmp_o_f32_e64 s[0:1], v12, v12
	v_cndmask_b32_e64 v6, v0, v6, s[0:1]
	ds_write_b16 v98, v6 offset:256
	v_bfe_u32 v6, v13, 16, 1
	v_add3_u32 v6, v13, v6, s6
	v_lshrrev_b32_e32 v6, 16, v6
	v_cmp_o_f32_e64 s[0:1], v13, v13
	v_cndmask_b32_e64 v6, v0, v6, s[0:1]
	;; [unrolled: 6-line block ×6, first 2 shown]
	ds_write_b16 v98, v0 offset:64
	s_waitcnt lgkmcnt(0)
	s_barrier
	ds_read_b128 v[0:3], v1
	s_and_b64 s[0:1], vcc, s[2:3]
	v_add_u32_e32 v4, s7, v87
	v_cndmask_b32_e64 v5, v99, 0, s[0:1]
	v_lshl_add_u32 v4, v4, 1, v5
	s_waitcnt lgkmcnt(0)
	buffer_store_dwordx4 v[0:3], v4, s[16:19], 0 offen
	s_endpgm
	.section	.rodata,"a",@progbits
	.p2align	6, 0x0
	.amdhsa_kernel _ZN2ck27kernel_gemm_xdl_cshuffle_v3INS_28GridwiseGemm_xdl_cshuffle_v3INS_13tensor_layout4gemm8RowMajorENS3_11ColumnMajorES4_ttfttNS_16tensor_operation12element_wise11PassThroughES8_S8_LNS6_6device18GemmSpecializationE0ELi256ELi128ELi128ELi64ELi8ELi8ELi16ELi16ELi4ELi4ENS_8SequenceIJLi8ELi32ELi1EEEENSB_IJLi1ELi0ELi2EEEESD_Li2ELi8ELi8ELb0ELi0ESC_SD_SD_Li2ELi8ELi8ELb0ELi0ELi1ELi2ENSB_IJLi1ELi32ELi1ELi8EEEELi8ELNS_26BlockGemmPipelineSchedulerE0ELNS_24BlockGemmPipelineVersionE2EttLb0ELb0ELb0ELi0ELb0EEELb1ELNS_25InMemoryDataOperationEnumE0ELi2ELNS_10TailNumberE10EEEvNT_8ArgumentE
		.amdhsa_group_segment_fixed_size 32768
		.amdhsa_private_segment_fixed_size 0
		.amdhsa_kernarg_size 112
		.amdhsa_user_sgpr_count 6
		.amdhsa_user_sgpr_private_segment_buffer 1
		.amdhsa_user_sgpr_dispatch_ptr 0
		.amdhsa_user_sgpr_queue_ptr 0
		.amdhsa_user_sgpr_kernarg_segment_ptr 1
		.amdhsa_user_sgpr_dispatch_id 0
		.amdhsa_user_sgpr_flat_scratch_init 0
		.amdhsa_user_sgpr_kernarg_preload_length 0
		.amdhsa_user_sgpr_kernarg_preload_offset 0
		.amdhsa_user_sgpr_private_segment_size 0
		.amdhsa_uses_dynamic_stack 0
		.amdhsa_system_sgpr_private_segment_wavefront_offset 0
		.amdhsa_system_sgpr_workgroup_id_x 1
		.amdhsa_system_sgpr_workgroup_id_y 0
		.amdhsa_system_sgpr_workgroup_id_z 1
		.amdhsa_system_sgpr_workgroup_info 0
		.amdhsa_system_vgpr_workitem_id 0
		.amdhsa_next_free_vgpr 195
		.amdhsa_next_free_sgpr 29
		.amdhsa_accum_offset 196
		.amdhsa_reserve_vcc 1
		.amdhsa_reserve_flat_scratch 0
		.amdhsa_float_round_mode_32 0
		.amdhsa_float_round_mode_16_64 0
		.amdhsa_float_denorm_mode_32 3
		.amdhsa_float_denorm_mode_16_64 3
		.amdhsa_dx10_clamp 1
		.amdhsa_ieee_mode 1
		.amdhsa_fp16_overflow 0
		.amdhsa_tg_split 0
		.amdhsa_exception_fp_ieee_invalid_op 0
		.amdhsa_exception_fp_denorm_src 0
		.amdhsa_exception_fp_ieee_div_zero 0
		.amdhsa_exception_fp_ieee_overflow 0
		.amdhsa_exception_fp_ieee_underflow 0
		.amdhsa_exception_fp_ieee_inexact 0
		.amdhsa_exception_int_div_zero 0
	.end_amdhsa_kernel
	.section	.text._ZN2ck27kernel_gemm_xdl_cshuffle_v3INS_28GridwiseGemm_xdl_cshuffle_v3INS_13tensor_layout4gemm8RowMajorENS3_11ColumnMajorES4_ttfttNS_16tensor_operation12element_wise11PassThroughES8_S8_LNS6_6device18GemmSpecializationE0ELi256ELi128ELi128ELi64ELi8ELi8ELi16ELi16ELi4ELi4ENS_8SequenceIJLi8ELi32ELi1EEEENSB_IJLi1ELi0ELi2EEEESD_Li2ELi8ELi8ELb0ELi0ESC_SD_SD_Li2ELi8ELi8ELb0ELi0ELi1ELi2ENSB_IJLi1ELi32ELi1ELi8EEEELi8ELNS_26BlockGemmPipelineSchedulerE0ELNS_24BlockGemmPipelineVersionE2EttLb0ELb0ELb0ELi0ELb0EEELb1ELNS_25InMemoryDataOperationEnumE0ELi2ELNS_10TailNumberE10EEEvNT_8ArgumentE,"axG",@progbits,_ZN2ck27kernel_gemm_xdl_cshuffle_v3INS_28GridwiseGemm_xdl_cshuffle_v3INS_13tensor_layout4gemm8RowMajorENS3_11ColumnMajorES4_ttfttNS_16tensor_operation12element_wise11PassThroughES8_S8_LNS6_6device18GemmSpecializationE0ELi256ELi128ELi128ELi64ELi8ELi8ELi16ELi16ELi4ELi4ENS_8SequenceIJLi8ELi32ELi1EEEENSB_IJLi1ELi0ELi2EEEESD_Li2ELi8ELi8ELb0ELi0ESC_SD_SD_Li2ELi8ELi8ELb0ELi0ELi1ELi2ENSB_IJLi1ELi32ELi1ELi8EEEELi8ELNS_26BlockGemmPipelineSchedulerE0ELNS_24BlockGemmPipelineVersionE2EttLb0ELb0ELb0ELi0ELb0EEELb1ELNS_25InMemoryDataOperationEnumE0ELi2ELNS_10TailNumberE10EEEvNT_8ArgumentE,comdat
.Lfunc_end2:
	.size	_ZN2ck27kernel_gemm_xdl_cshuffle_v3INS_28GridwiseGemm_xdl_cshuffle_v3INS_13tensor_layout4gemm8RowMajorENS3_11ColumnMajorES4_ttfttNS_16tensor_operation12element_wise11PassThroughES8_S8_LNS6_6device18GemmSpecializationE0ELi256ELi128ELi128ELi64ELi8ELi8ELi16ELi16ELi4ELi4ENS_8SequenceIJLi8ELi32ELi1EEEENSB_IJLi1ELi0ELi2EEEESD_Li2ELi8ELi8ELb0ELi0ESC_SD_SD_Li2ELi8ELi8ELb0ELi0ELi1ELi2ENSB_IJLi1ELi32ELi1ELi8EEEELi8ELNS_26BlockGemmPipelineSchedulerE0ELNS_24BlockGemmPipelineVersionE2EttLb0ELb0ELb0ELi0ELb0EEELb1ELNS_25InMemoryDataOperationEnumE0ELi2ELNS_10TailNumberE10EEEvNT_8ArgumentE, .Lfunc_end2-_ZN2ck27kernel_gemm_xdl_cshuffle_v3INS_28GridwiseGemm_xdl_cshuffle_v3INS_13tensor_layout4gemm8RowMajorENS3_11ColumnMajorES4_ttfttNS_16tensor_operation12element_wise11PassThroughES8_S8_LNS6_6device18GemmSpecializationE0ELi256ELi128ELi128ELi64ELi8ELi8ELi16ELi16ELi4ELi4ENS_8SequenceIJLi8ELi32ELi1EEEENSB_IJLi1ELi0ELi2EEEESD_Li2ELi8ELi8ELb0ELi0ESC_SD_SD_Li2ELi8ELi8ELb0ELi0ELi1ELi2ENSB_IJLi1ELi32ELi1ELi8EEEELi8ELNS_26BlockGemmPipelineSchedulerE0ELNS_24BlockGemmPipelineVersionE2EttLb0ELb0ELb0ELi0ELb0EEELb1ELNS_25InMemoryDataOperationEnumE0ELi2ELNS_10TailNumberE10EEEvNT_8ArgumentE
                                        ; -- End function
	.section	.AMDGPU.csdata,"",@progbits
; Kernel info:
; codeLenInByte = 7368
; NumSgprs: 33
; NumVgprs: 195
; NumAgprs: 0
; TotalNumVgprs: 195
; ScratchSize: 0
; MemoryBound: 0
; FloatMode: 240
; IeeeMode: 1
; LDSByteSize: 32768 bytes/workgroup (compile time only)
; SGPRBlocks: 4
; VGPRBlocks: 24
; NumSGPRsForWavesPerEU: 33
; NumVGPRsForWavesPerEU: 195
; AccumOffset: 196
; Occupancy: 2
; WaveLimiterHint : 0
; COMPUTE_PGM_RSRC2:SCRATCH_EN: 0
; COMPUTE_PGM_RSRC2:USER_SGPR: 6
; COMPUTE_PGM_RSRC2:TRAP_HANDLER: 0
; COMPUTE_PGM_RSRC2:TGID_X_EN: 1
; COMPUTE_PGM_RSRC2:TGID_Y_EN: 0
; COMPUTE_PGM_RSRC2:TGID_Z_EN: 1
; COMPUTE_PGM_RSRC2:TIDIG_COMP_CNT: 0
; COMPUTE_PGM_RSRC3_GFX90A:ACCUM_OFFSET: 48
; COMPUTE_PGM_RSRC3_GFX90A:TG_SPLIT: 0
	.section	.text._ZN2ck27kernel_gemm_xdl_cshuffle_v3INS_28GridwiseGemm_xdl_cshuffle_v3INS_13tensor_layout4gemm8RowMajorENS3_11ColumnMajorES4_ttfttNS_16tensor_operation12element_wise11PassThroughES8_S8_LNS6_6device18GemmSpecializationE0ELi256ELi128ELi128ELi64ELi8ELi8ELi16ELi16ELi4ELi2ENS_8SequenceIJLi8ELi32ELi1EEEENSB_IJLi1ELi0ELi2EEEESD_Li2ELi8ELi8ELb0ELi0ESC_SD_SD_Li2ELi8ELi8ELb0ELi0ELi1ELi2ENSB_IJLi1ELi32ELi1ELi8EEEELi8ELNS_26BlockGemmPipelineSchedulerE0ELNS_24BlockGemmPipelineVersionE2EttLb0ELb0ELb0ELi0ELb0EEELb1ELNS_25InMemoryDataOperationEnumE1ELi2ELNS_10TailNumberE10EEEvNT_8ArgumentE,"axG",@progbits,_ZN2ck27kernel_gemm_xdl_cshuffle_v3INS_28GridwiseGemm_xdl_cshuffle_v3INS_13tensor_layout4gemm8RowMajorENS3_11ColumnMajorES4_ttfttNS_16tensor_operation12element_wise11PassThroughES8_S8_LNS6_6device18GemmSpecializationE0ELi256ELi128ELi128ELi64ELi8ELi8ELi16ELi16ELi4ELi2ENS_8SequenceIJLi8ELi32ELi1EEEENSB_IJLi1ELi0ELi2EEEESD_Li2ELi8ELi8ELb0ELi0ESC_SD_SD_Li2ELi8ELi8ELb0ELi0ELi1ELi2ENSB_IJLi1ELi32ELi1ELi8EEEELi8ELNS_26BlockGemmPipelineSchedulerE0ELNS_24BlockGemmPipelineVersionE2EttLb0ELb0ELb0ELi0ELb0EEELb1ELNS_25InMemoryDataOperationEnumE1ELi2ELNS_10TailNumberE10EEEvNT_8ArgumentE,comdat
	.protected	_ZN2ck27kernel_gemm_xdl_cshuffle_v3INS_28GridwiseGemm_xdl_cshuffle_v3INS_13tensor_layout4gemm8RowMajorENS3_11ColumnMajorES4_ttfttNS_16tensor_operation12element_wise11PassThroughES8_S8_LNS6_6device18GemmSpecializationE0ELi256ELi128ELi128ELi64ELi8ELi8ELi16ELi16ELi4ELi2ENS_8SequenceIJLi8ELi32ELi1EEEENSB_IJLi1ELi0ELi2EEEESD_Li2ELi8ELi8ELb0ELi0ESC_SD_SD_Li2ELi8ELi8ELb0ELi0ELi1ELi2ENSB_IJLi1ELi32ELi1ELi8EEEELi8ELNS_26BlockGemmPipelineSchedulerE0ELNS_24BlockGemmPipelineVersionE2EttLb0ELb0ELb0ELi0ELb0EEELb1ELNS_25InMemoryDataOperationEnumE1ELi2ELNS_10TailNumberE10EEEvNT_8ArgumentE ; -- Begin function _ZN2ck27kernel_gemm_xdl_cshuffle_v3INS_28GridwiseGemm_xdl_cshuffle_v3INS_13tensor_layout4gemm8RowMajorENS3_11ColumnMajorES4_ttfttNS_16tensor_operation12element_wise11PassThroughES8_S8_LNS6_6device18GemmSpecializationE0ELi256ELi128ELi128ELi64ELi8ELi8ELi16ELi16ELi4ELi2ENS_8SequenceIJLi8ELi32ELi1EEEENSB_IJLi1ELi0ELi2EEEESD_Li2ELi8ELi8ELb0ELi0ESC_SD_SD_Li2ELi8ELi8ELb0ELi0ELi1ELi2ENSB_IJLi1ELi32ELi1ELi8EEEELi8ELNS_26BlockGemmPipelineSchedulerE0ELNS_24BlockGemmPipelineVersionE2EttLb0ELb0ELb0ELi0ELb0EEELb1ELNS_25InMemoryDataOperationEnumE1ELi2ELNS_10TailNumberE10EEEvNT_8ArgumentE
	.globl	_ZN2ck27kernel_gemm_xdl_cshuffle_v3INS_28GridwiseGemm_xdl_cshuffle_v3INS_13tensor_layout4gemm8RowMajorENS3_11ColumnMajorES4_ttfttNS_16tensor_operation12element_wise11PassThroughES8_S8_LNS6_6device18GemmSpecializationE0ELi256ELi128ELi128ELi64ELi8ELi8ELi16ELi16ELi4ELi2ENS_8SequenceIJLi8ELi32ELi1EEEENSB_IJLi1ELi0ELi2EEEESD_Li2ELi8ELi8ELb0ELi0ESC_SD_SD_Li2ELi8ELi8ELb0ELi0ELi1ELi2ENSB_IJLi1ELi32ELi1ELi8EEEELi8ELNS_26BlockGemmPipelineSchedulerE0ELNS_24BlockGemmPipelineVersionE2EttLb0ELb0ELb0ELi0ELb0EEELb1ELNS_25InMemoryDataOperationEnumE1ELi2ELNS_10TailNumberE10EEEvNT_8ArgumentE
	.p2align	8
	.type	_ZN2ck27kernel_gemm_xdl_cshuffle_v3INS_28GridwiseGemm_xdl_cshuffle_v3INS_13tensor_layout4gemm8RowMajorENS3_11ColumnMajorES4_ttfttNS_16tensor_operation12element_wise11PassThroughES8_S8_LNS6_6device18GemmSpecializationE0ELi256ELi128ELi128ELi64ELi8ELi8ELi16ELi16ELi4ELi2ENS_8SequenceIJLi8ELi32ELi1EEEENSB_IJLi1ELi0ELi2EEEESD_Li2ELi8ELi8ELb0ELi0ESC_SD_SD_Li2ELi8ELi8ELb0ELi0ELi1ELi2ENSB_IJLi1ELi32ELi1ELi8EEEELi8ELNS_26BlockGemmPipelineSchedulerE0ELNS_24BlockGemmPipelineVersionE2EttLb0ELb0ELb0ELi0ELb0EEELb1ELNS_25InMemoryDataOperationEnumE1ELi2ELNS_10TailNumberE10EEEvNT_8ArgumentE,@function
_ZN2ck27kernel_gemm_xdl_cshuffle_v3INS_28GridwiseGemm_xdl_cshuffle_v3INS_13tensor_layout4gemm8RowMajorENS3_11ColumnMajorES4_ttfttNS_16tensor_operation12element_wise11PassThroughES8_S8_LNS6_6device18GemmSpecializationE0ELi256ELi128ELi128ELi64ELi8ELi8ELi16ELi16ELi4ELi2ENS_8SequenceIJLi8ELi32ELi1EEEENSB_IJLi1ELi0ELi2EEEESD_Li2ELi8ELi8ELb0ELi0ESC_SD_SD_Li2ELi8ELi8ELb0ELi0ELi1ELi2ENSB_IJLi1ELi32ELi1ELi8EEEELi8ELNS_26BlockGemmPipelineSchedulerE0ELNS_24BlockGemmPipelineVersionE2EttLb0ELb0ELb0ELi0ELb0EEELb1ELNS_25InMemoryDataOperationEnumE1ELi2ELNS_10TailNumberE10EEEvNT_8ArgumentE: ; @_ZN2ck27kernel_gemm_xdl_cshuffle_v3INS_28GridwiseGemm_xdl_cshuffle_v3INS_13tensor_layout4gemm8RowMajorENS3_11ColumnMajorES4_ttfttNS_16tensor_operation12element_wise11PassThroughES8_S8_LNS6_6device18GemmSpecializationE0ELi256ELi128ELi128ELi64ELi8ELi8ELi16ELi16ELi4ELi2ENS_8SequenceIJLi8ELi32ELi1EEEENSB_IJLi1ELi0ELi2EEEESD_Li2ELi8ELi8ELb0ELi0ESC_SD_SD_Li2ELi8ELi8ELb0ELi0ELi1ELi2ENSB_IJLi1ELi32ELi1ELi8EEEELi8ELNS_26BlockGemmPipelineSchedulerE0ELNS_24BlockGemmPipelineVersionE2EttLb0ELb0ELb0ELi0ELb0EEELb1ELNS_25InMemoryDataOperationEnumE1ELi2ELNS_10TailNumberE10EEEvNT_8ArgumentE
; %bb.0:
	s_endpgm
	.section	.rodata,"a",@progbits
	.p2align	6, 0x0
	.amdhsa_kernel _ZN2ck27kernel_gemm_xdl_cshuffle_v3INS_28GridwiseGemm_xdl_cshuffle_v3INS_13tensor_layout4gemm8RowMajorENS3_11ColumnMajorES4_ttfttNS_16tensor_operation12element_wise11PassThroughES8_S8_LNS6_6device18GemmSpecializationE0ELi256ELi128ELi128ELi64ELi8ELi8ELi16ELi16ELi4ELi2ENS_8SequenceIJLi8ELi32ELi1EEEENSB_IJLi1ELi0ELi2EEEESD_Li2ELi8ELi8ELb0ELi0ESC_SD_SD_Li2ELi8ELi8ELb0ELi0ELi1ELi2ENSB_IJLi1ELi32ELi1ELi8EEEELi8ELNS_26BlockGemmPipelineSchedulerE0ELNS_24BlockGemmPipelineVersionE2EttLb0ELb0ELb0ELi0ELb0EEELb1ELNS_25InMemoryDataOperationEnumE1ELi2ELNS_10TailNumberE10EEEvNT_8ArgumentE
		.amdhsa_group_segment_fixed_size 0
		.amdhsa_private_segment_fixed_size 0
		.amdhsa_kernarg_size 112
		.amdhsa_user_sgpr_count 6
		.amdhsa_user_sgpr_private_segment_buffer 1
		.amdhsa_user_sgpr_dispatch_ptr 0
		.amdhsa_user_sgpr_queue_ptr 0
		.amdhsa_user_sgpr_kernarg_segment_ptr 1
		.amdhsa_user_sgpr_dispatch_id 0
		.amdhsa_user_sgpr_flat_scratch_init 0
		.amdhsa_user_sgpr_kernarg_preload_length 0
		.amdhsa_user_sgpr_kernarg_preload_offset 0
		.amdhsa_user_sgpr_private_segment_size 0
		.amdhsa_uses_dynamic_stack 0
		.amdhsa_system_sgpr_private_segment_wavefront_offset 0
		.amdhsa_system_sgpr_workgroup_id_x 1
		.amdhsa_system_sgpr_workgroup_id_y 0
		.amdhsa_system_sgpr_workgroup_id_z 0
		.amdhsa_system_sgpr_workgroup_info 0
		.amdhsa_system_vgpr_workitem_id 0
		.amdhsa_next_free_vgpr 1
		.amdhsa_next_free_sgpr 0
		.amdhsa_accum_offset 4
		.amdhsa_reserve_vcc 0
		.amdhsa_reserve_flat_scratch 0
		.amdhsa_float_round_mode_32 0
		.amdhsa_float_round_mode_16_64 0
		.amdhsa_float_denorm_mode_32 3
		.amdhsa_float_denorm_mode_16_64 3
		.amdhsa_dx10_clamp 1
		.amdhsa_ieee_mode 1
		.amdhsa_fp16_overflow 0
		.amdhsa_tg_split 0
		.amdhsa_exception_fp_ieee_invalid_op 0
		.amdhsa_exception_fp_denorm_src 0
		.amdhsa_exception_fp_ieee_div_zero 0
		.amdhsa_exception_fp_ieee_overflow 0
		.amdhsa_exception_fp_ieee_underflow 0
		.amdhsa_exception_fp_ieee_inexact 0
		.amdhsa_exception_int_div_zero 0
	.end_amdhsa_kernel
	.section	.text._ZN2ck27kernel_gemm_xdl_cshuffle_v3INS_28GridwiseGemm_xdl_cshuffle_v3INS_13tensor_layout4gemm8RowMajorENS3_11ColumnMajorES4_ttfttNS_16tensor_operation12element_wise11PassThroughES8_S8_LNS6_6device18GemmSpecializationE0ELi256ELi128ELi128ELi64ELi8ELi8ELi16ELi16ELi4ELi2ENS_8SequenceIJLi8ELi32ELi1EEEENSB_IJLi1ELi0ELi2EEEESD_Li2ELi8ELi8ELb0ELi0ESC_SD_SD_Li2ELi8ELi8ELb0ELi0ELi1ELi2ENSB_IJLi1ELi32ELi1ELi8EEEELi8ELNS_26BlockGemmPipelineSchedulerE0ELNS_24BlockGemmPipelineVersionE2EttLb0ELb0ELb0ELi0ELb0EEELb1ELNS_25InMemoryDataOperationEnumE1ELi2ELNS_10TailNumberE10EEEvNT_8ArgumentE,"axG",@progbits,_ZN2ck27kernel_gemm_xdl_cshuffle_v3INS_28GridwiseGemm_xdl_cshuffle_v3INS_13tensor_layout4gemm8RowMajorENS3_11ColumnMajorES4_ttfttNS_16tensor_operation12element_wise11PassThroughES8_S8_LNS6_6device18GemmSpecializationE0ELi256ELi128ELi128ELi64ELi8ELi8ELi16ELi16ELi4ELi2ENS_8SequenceIJLi8ELi32ELi1EEEENSB_IJLi1ELi0ELi2EEEESD_Li2ELi8ELi8ELb0ELi0ESC_SD_SD_Li2ELi8ELi8ELb0ELi0ELi1ELi2ENSB_IJLi1ELi32ELi1ELi8EEEELi8ELNS_26BlockGemmPipelineSchedulerE0ELNS_24BlockGemmPipelineVersionE2EttLb0ELb0ELb0ELi0ELb0EEELb1ELNS_25InMemoryDataOperationEnumE1ELi2ELNS_10TailNumberE10EEEvNT_8ArgumentE,comdat
.Lfunc_end3:
	.size	_ZN2ck27kernel_gemm_xdl_cshuffle_v3INS_28GridwiseGemm_xdl_cshuffle_v3INS_13tensor_layout4gemm8RowMajorENS3_11ColumnMajorES4_ttfttNS_16tensor_operation12element_wise11PassThroughES8_S8_LNS6_6device18GemmSpecializationE0ELi256ELi128ELi128ELi64ELi8ELi8ELi16ELi16ELi4ELi2ENS_8SequenceIJLi8ELi32ELi1EEEENSB_IJLi1ELi0ELi2EEEESD_Li2ELi8ELi8ELb0ELi0ESC_SD_SD_Li2ELi8ELi8ELb0ELi0ELi1ELi2ENSB_IJLi1ELi32ELi1ELi8EEEELi8ELNS_26BlockGemmPipelineSchedulerE0ELNS_24BlockGemmPipelineVersionE2EttLb0ELb0ELb0ELi0ELb0EEELb1ELNS_25InMemoryDataOperationEnumE1ELi2ELNS_10TailNumberE10EEEvNT_8ArgumentE, .Lfunc_end3-_ZN2ck27kernel_gemm_xdl_cshuffle_v3INS_28GridwiseGemm_xdl_cshuffle_v3INS_13tensor_layout4gemm8RowMajorENS3_11ColumnMajorES4_ttfttNS_16tensor_operation12element_wise11PassThroughES8_S8_LNS6_6device18GemmSpecializationE0ELi256ELi128ELi128ELi64ELi8ELi8ELi16ELi16ELi4ELi2ENS_8SequenceIJLi8ELi32ELi1EEEENSB_IJLi1ELi0ELi2EEEESD_Li2ELi8ELi8ELb0ELi0ESC_SD_SD_Li2ELi8ELi8ELb0ELi0ELi1ELi2ENSB_IJLi1ELi32ELi1ELi8EEEELi8ELNS_26BlockGemmPipelineSchedulerE0ELNS_24BlockGemmPipelineVersionE2EttLb0ELb0ELb0ELi0ELb0EEELb1ELNS_25InMemoryDataOperationEnumE1ELi2ELNS_10TailNumberE10EEEvNT_8ArgumentE
                                        ; -- End function
	.section	.AMDGPU.csdata,"",@progbits
; Kernel info:
; codeLenInByte = 4
; NumSgprs: 4
; NumVgprs: 0
; NumAgprs: 0
; TotalNumVgprs: 0
; ScratchSize: 0
; MemoryBound: 0
; FloatMode: 240
; IeeeMode: 1
; LDSByteSize: 0 bytes/workgroup (compile time only)
; SGPRBlocks: 0
; VGPRBlocks: 0
; NumSGPRsForWavesPerEU: 4
; NumVGPRsForWavesPerEU: 1
; AccumOffset: 4
; Occupancy: 8
; WaveLimiterHint : 0
; COMPUTE_PGM_RSRC2:SCRATCH_EN: 0
; COMPUTE_PGM_RSRC2:USER_SGPR: 6
; COMPUTE_PGM_RSRC2:TRAP_HANDLER: 0
; COMPUTE_PGM_RSRC2:TGID_X_EN: 1
; COMPUTE_PGM_RSRC2:TGID_Y_EN: 0
; COMPUTE_PGM_RSRC2:TGID_Z_EN: 0
; COMPUTE_PGM_RSRC2:TIDIG_COMP_CNT: 0
; COMPUTE_PGM_RSRC3_GFX90A:ACCUM_OFFSET: 0
; COMPUTE_PGM_RSRC3_GFX90A:TG_SPLIT: 0
	.section	.text._ZN2ck27kernel_gemm_xdl_cshuffle_v3INS_28GridwiseGemm_xdl_cshuffle_v3INS_13tensor_layout4gemm8RowMajorENS3_11ColumnMajorES4_ttfttNS_16tensor_operation12element_wise11PassThroughES8_S8_LNS6_6device18GemmSpecializationE0ELi256ELi128ELi128ELi64ELi8ELi8ELi16ELi16ELi4ELi2ENS_8SequenceIJLi8ELi32ELi1EEEENSB_IJLi1ELi0ELi2EEEESD_Li2ELi8ELi8ELb0ELi0ESC_SD_SD_Li2ELi8ELi8ELb0ELi0ELi1ELi2ENSB_IJLi1ELi32ELi1ELi8EEEELi8ELNS_26BlockGemmPipelineSchedulerE0ELNS_24BlockGemmPipelineVersionE2EttLb0ELb0ELb0ELi0ELb0EEELb1ELNS_25InMemoryDataOperationEnumE0ELi2ELNS_10TailNumberE10EEEvNT_8ArgumentE,"axG",@progbits,_ZN2ck27kernel_gemm_xdl_cshuffle_v3INS_28GridwiseGemm_xdl_cshuffle_v3INS_13tensor_layout4gemm8RowMajorENS3_11ColumnMajorES4_ttfttNS_16tensor_operation12element_wise11PassThroughES8_S8_LNS6_6device18GemmSpecializationE0ELi256ELi128ELi128ELi64ELi8ELi8ELi16ELi16ELi4ELi2ENS_8SequenceIJLi8ELi32ELi1EEEENSB_IJLi1ELi0ELi2EEEESD_Li2ELi8ELi8ELb0ELi0ESC_SD_SD_Li2ELi8ELi8ELb0ELi0ELi1ELi2ENSB_IJLi1ELi32ELi1ELi8EEEELi8ELNS_26BlockGemmPipelineSchedulerE0ELNS_24BlockGemmPipelineVersionE2EttLb0ELb0ELb0ELi0ELb0EEELb1ELNS_25InMemoryDataOperationEnumE0ELi2ELNS_10TailNumberE10EEEvNT_8ArgumentE,comdat
	.protected	_ZN2ck27kernel_gemm_xdl_cshuffle_v3INS_28GridwiseGemm_xdl_cshuffle_v3INS_13tensor_layout4gemm8RowMajorENS3_11ColumnMajorES4_ttfttNS_16tensor_operation12element_wise11PassThroughES8_S8_LNS6_6device18GemmSpecializationE0ELi256ELi128ELi128ELi64ELi8ELi8ELi16ELi16ELi4ELi2ENS_8SequenceIJLi8ELi32ELi1EEEENSB_IJLi1ELi0ELi2EEEESD_Li2ELi8ELi8ELb0ELi0ESC_SD_SD_Li2ELi8ELi8ELb0ELi0ELi1ELi2ENSB_IJLi1ELi32ELi1ELi8EEEELi8ELNS_26BlockGemmPipelineSchedulerE0ELNS_24BlockGemmPipelineVersionE2EttLb0ELb0ELb0ELi0ELb0EEELb1ELNS_25InMemoryDataOperationEnumE0ELi2ELNS_10TailNumberE10EEEvNT_8ArgumentE ; -- Begin function _ZN2ck27kernel_gemm_xdl_cshuffle_v3INS_28GridwiseGemm_xdl_cshuffle_v3INS_13tensor_layout4gemm8RowMajorENS3_11ColumnMajorES4_ttfttNS_16tensor_operation12element_wise11PassThroughES8_S8_LNS6_6device18GemmSpecializationE0ELi256ELi128ELi128ELi64ELi8ELi8ELi16ELi16ELi4ELi2ENS_8SequenceIJLi8ELi32ELi1EEEENSB_IJLi1ELi0ELi2EEEESD_Li2ELi8ELi8ELb0ELi0ESC_SD_SD_Li2ELi8ELi8ELb0ELi0ELi1ELi2ENSB_IJLi1ELi32ELi1ELi8EEEELi8ELNS_26BlockGemmPipelineSchedulerE0ELNS_24BlockGemmPipelineVersionE2EttLb0ELb0ELb0ELi0ELb0EEELb1ELNS_25InMemoryDataOperationEnumE0ELi2ELNS_10TailNumberE10EEEvNT_8ArgumentE
	.globl	_ZN2ck27kernel_gemm_xdl_cshuffle_v3INS_28GridwiseGemm_xdl_cshuffle_v3INS_13tensor_layout4gemm8RowMajorENS3_11ColumnMajorES4_ttfttNS_16tensor_operation12element_wise11PassThroughES8_S8_LNS6_6device18GemmSpecializationE0ELi256ELi128ELi128ELi64ELi8ELi8ELi16ELi16ELi4ELi2ENS_8SequenceIJLi8ELi32ELi1EEEENSB_IJLi1ELi0ELi2EEEESD_Li2ELi8ELi8ELb0ELi0ESC_SD_SD_Li2ELi8ELi8ELb0ELi0ELi1ELi2ENSB_IJLi1ELi32ELi1ELi8EEEELi8ELNS_26BlockGemmPipelineSchedulerE0ELNS_24BlockGemmPipelineVersionE2EttLb0ELb0ELb0ELi0ELb0EEELb1ELNS_25InMemoryDataOperationEnumE0ELi2ELNS_10TailNumberE10EEEvNT_8ArgumentE
	.p2align	8
	.type	_ZN2ck27kernel_gemm_xdl_cshuffle_v3INS_28GridwiseGemm_xdl_cshuffle_v3INS_13tensor_layout4gemm8RowMajorENS3_11ColumnMajorES4_ttfttNS_16tensor_operation12element_wise11PassThroughES8_S8_LNS6_6device18GemmSpecializationE0ELi256ELi128ELi128ELi64ELi8ELi8ELi16ELi16ELi4ELi2ENS_8SequenceIJLi8ELi32ELi1EEEENSB_IJLi1ELi0ELi2EEEESD_Li2ELi8ELi8ELb0ELi0ESC_SD_SD_Li2ELi8ELi8ELb0ELi0ELi1ELi2ENSB_IJLi1ELi32ELi1ELi8EEEELi8ELNS_26BlockGemmPipelineSchedulerE0ELNS_24BlockGemmPipelineVersionE2EttLb0ELb0ELb0ELi0ELb0EEELb1ELNS_25InMemoryDataOperationEnumE0ELi2ELNS_10TailNumberE10EEEvNT_8ArgumentE,@function
_ZN2ck27kernel_gemm_xdl_cshuffle_v3INS_28GridwiseGemm_xdl_cshuffle_v3INS_13tensor_layout4gemm8RowMajorENS3_11ColumnMajorES4_ttfttNS_16tensor_operation12element_wise11PassThroughES8_S8_LNS6_6device18GemmSpecializationE0ELi256ELi128ELi128ELi64ELi8ELi8ELi16ELi16ELi4ELi2ENS_8SequenceIJLi8ELi32ELi1EEEENSB_IJLi1ELi0ELi2EEEESD_Li2ELi8ELi8ELb0ELi0ESC_SD_SD_Li2ELi8ELi8ELb0ELi0ELi1ELi2ENSB_IJLi1ELi32ELi1ELi8EEEELi8ELNS_26BlockGemmPipelineSchedulerE0ELNS_24BlockGemmPipelineVersionE2EttLb0ELb0ELb0ELi0ELb0EEELb1ELNS_25InMemoryDataOperationEnumE0ELi2ELNS_10TailNumberE10EEEvNT_8ArgumentE: ; @_ZN2ck27kernel_gemm_xdl_cshuffle_v3INS_28GridwiseGemm_xdl_cshuffle_v3INS_13tensor_layout4gemm8RowMajorENS3_11ColumnMajorES4_ttfttNS_16tensor_operation12element_wise11PassThroughES8_S8_LNS6_6device18GemmSpecializationE0ELi256ELi128ELi128ELi64ELi8ELi8ELi16ELi16ELi4ELi2ENS_8SequenceIJLi8ELi32ELi1EEEENSB_IJLi1ELi0ELi2EEEESD_Li2ELi8ELi8ELb0ELi0ESC_SD_SD_Li2ELi8ELi8ELb0ELi0ELi1ELi2ENSB_IJLi1ELi32ELi1ELi8EEEELi8ELNS_26BlockGemmPipelineSchedulerE0ELNS_24BlockGemmPipelineVersionE2EttLb0ELb0ELb0ELi0ELb0EEELb1ELNS_25InMemoryDataOperationEnumE0ELi2ELNS_10TailNumberE10EEEvNT_8ArgumentE
; %bb.0:
	s_endpgm
	.section	.rodata,"a",@progbits
	.p2align	6, 0x0
	.amdhsa_kernel _ZN2ck27kernel_gemm_xdl_cshuffle_v3INS_28GridwiseGemm_xdl_cshuffle_v3INS_13tensor_layout4gemm8RowMajorENS3_11ColumnMajorES4_ttfttNS_16tensor_operation12element_wise11PassThroughES8_S8_LNS6_6device18GemmSpecializationE0ELi256ELi128ELi128ELi64ELi8ELi8ELi16ELi16ELi4ELi2ENS_8SequenceIJLi8ELi32ELi1EEEENSB_IJLi1ELi0ELi2EEEESD_Li2ELi8ELi8ELb0ELi0ESC_SD_SD_Li2ELi8ELi8ELb0ELi0ELi1ELi2ENSB_IJLi1ELi32ELi1ELi8EEEELi8ELNS_26BlockGemmPipelineSchedulerE0ELNS_24BlockGemmPipelineVersionE2EttLb0ELb0ELb0ELi0ELb0EEELb1ELNS_25InMemoryDataOperationEnumE0ELi2ELNS_10TailNumberE10EEEvNT_8ArgumentE
		.amdhsa_group_segment_fixed_size 0
		.amdhsa_private_segment_fixed_size 0
		.amdhsa_kernarg_size 112
		.amdhsa_user_sgpr_count 6
		.amdhsa_user_sgpr_private_segment_buffer 1
		.amdhsa_user_sgpr_dispatch_ptr 0
		.amdhsa_user_sgpr_queue_ptr 0
		.amdhsa_user_sgpr_kernarg_segment_ptr 1
		.amdhsa_user_sgpr_dispatch_id 0
		.amdhsa_user_sgpr_flat_scratch_init 0
		.amdhsa_user_sgpr_kernarg_preload_length 0
		.amdhsa_user_sgpr_kernarg_preload_offset 0
		.amdhsa_user_sgpr_private_segment_size 0
		.amdhsa_uses_dynamic_stack 0
		.amdhsa_system_sgpr_private_segment_wavefront_offset 0
		.amdhsa_system_sgpr_workgroup_id_x 1
		.amdhsa_system_sgpr_workgroup_id_y 0
		.amdhsa_system_sgpr_workgroup_id_z 0
		.amdhsa_system_sgpr_workgroup_info 0
		.amdhsa_system_vgpr_workitem_id 0
		.amdhsa_next_free_vgpr 1
		.amdhsa_next_free_sgpr 0
		.amdhsa_accum_offset 4
		.amdhsa_reserve_vcc 0
		.amdhsa_reserve_flat_scratch 0
		.amdhsa_float_round_mode_32 0
		.amdhsa_float_round_mode_16_64 0
		.amdhsa_float_denorm_mode_32 3
		.amdhsa_float_denorm_mode_16_64 3
		.amdhsa_dx10_clamp 1
		.amdhsa_ieee_mode 1
		.amdhsa_fp16_overflow 0
		.amdhsa_tg_split 0
		.amdhsa_exception_fp_ieee_invalid_op 0
		.amdhsa_exception_fp_denorm_src 0
		.amdhsa_exception_fp_ieee_div_zero 0
		.amdhsa_exception_fp_ieee_overflow 0
		.amdhsa_exception_fp_ieee_underflow 0
		.amdhsa_exception_fp_ieee_inexact 0
		.amdhsa_exception_int_div_zero 0
	.end_amdhsa_kernel
	.section	.text._ZN2ck27kernel_gemm_xdl_cshuffle_v3INS_28GridwiseGemm_xdl_cshuffle_v3INS_13tensor_layout4gemm8RowMajorENS3_11ColumnMajorES4_ttfttNS_16tensor_operation12element_wise11PassThroughES8_S8_LNS6_6device18GemmSpecializationE0ELi256ELi128ELi128ELi64ELi8ELi8ELi16ELi16ELi4ELi2ENS_8SequenceIJLi8ELi32ELi1EEEENSB_IJLi1ELi0ELi2EEEESD_Li2ELi8ELi8ELb0ELi0ESC_SD_SD_Li2ELi8ELi8ELb0ELi0ELi1ELi2ENSB_IJLi1ELi32ELi1ELi8EEEELi8ELNS_26BlockGemmPipelineSchedulerE0ELNS_24BlockGemmPipelineVersionE2EttLb0ELb0ELb0ELi0ELb0EEELb1ELNS_25InMemoryDataOperationEnumE0ELi2ELNS_10TailNumberE10EEEvNT_8ArgumentE,"axG",@progbits,_ZN2ck27kernel_gemm_xdl_cshuffle_v3INS_28GridwiseGemm_xdl_cshuffle_v3INS_13tensor_layout4gemm8RowMajorENS3_11ColumnMajorES4_ttfttNS_16tensor_operation12element_wise11PassThroughES8_S8_LNS6_6device18GemmSpecializationE0ELi256ELi128ELi128ELi64ELi8ELi8ELi16ELi16ELi4ELi2ENS_8SequenceIJLi8ELi32ELi1EEEENSB_IJLi1ELi0ELi2EEEESD_Li2ELi8ELi8ELb0ELi0ESC_SD_SD_Li2ELi8ELi8ELb0ELi0ELi1ELi2ENSB_IJLi1ELi32ELi1ELi8EEEELi8ELNS_26BlockGemmPipelineSchedulerE0ELNS_24BlockGemmPipelineVersionE2EttLb0ELb0ELb0ELi0ELb0EEELb1ELNS_25InMemoryDataOperationEnumE0ELi2ELNS_10TailNumberE10EEEvNT_8ArgumentE,comdat
.Lfunc_end4:
	.size	_ZN2ck27kernel_gemm_xdl_cshuffle_v3INS_28GridwiseGemm_xdl_cshuffle_v3INS_13tensor_layout4gemm8RowMajorENS3_11ColumnMajorES4_ttfttNS_16tensor_operation12element_wise11PassThroughES8_S8_LNS6_6device18GemmSpecializationE0ELi256ELi128ELi128ELi64ELi8ELi8ELi16ELi16ELi4ELi2ENS_8SequenceIJLi8ELi32ELi1EEEENSB_IJLi1ELi0ELi2EEEESD_Li2ELi8ELi8ELb0ELi0ESC_SD_SD_Li2ELi8ELi8ELb0ELi0ELi1ELi2ENSB_IJLi1ELi32ELi1ELi8EEEELi8ELNS_26BlockGemmPipelineSchedulerE0ELNS_24BlockGemmPipelineVersionE2EttLb0ELb0ELb0ELi0ELb0EEELb1ELNS_25InMemoryDataOperationEnumE0ELi2ELNS_10TailNumberE10EEEvNT_8ArgumentE, .Lfunc_end4-_ZN2ck27kernel_gemm_xdl_cshuffle_v3INS_28GridwiseGemm_xdl_cshuffle_v3INS_13tensor_layout4gemm8RowMajorENS3_11ColumnMajorES4_ttfttNS_16tensor_operation12element_wise11PassThroughES8_S8_LNS6_6device18GemmSpecializationE0ELi256ELi128ELi128ELi64ELi8ELi8ELi16ELi16ELi4ELi2ENS_8SequenceIJLi8ELi32ELi1EEEENSB_IJLi1ELi0ELi2EEEESD_Li2ELi8ELi8ELb0ELi0ESC_SD_SD_Li2ELi8ELi8ELb0ELi0ELi1ELi2ENSB_IJLi1ELi32ELi1ELi8EEEELi8ELNS_26BlockGemmPipelineSchedulerE0ELNS_24BlockGemmPipelineVersionE2EttLb0ELb0ELb0ELi0ELb0EEELb1ELNS_25InMemoryDataOperationEnumE0ELi2ELNS_10TailNumberE10EEEvNT_8ArgumentE
                                        ; -- End function
	.section	.AMDGPU.csdata,"",@progbits
; Kernel info:
; codeLenInByte = 4
; NumSgprs: 4
; NumVgprs: 0
; NumAgprs: 0
; TotalNumVgprs: 0
; ScratchSize: 0
; MemoryBound: 0
; FloatMode: 240
; IeeeMode: 1
; LDSByteSize: 0 bytes/workgroup (compile time only)
; SGPRBlocks: 0
; VGPRBlocks: 0
; NumSGPRsForWavesPerEU: 4
; NumVGPRsForWavesPerEU: 1
; AccumOffset: 4
; Occupancy: 8
; WaveLimiterHint : 0
; COMPUTE_PGM_RSRC2:SCRATCH_EN: 0
; COMPUTE_PGM_RSRC2:USER_SGPR: 6
; COMPUTE_PGM_RSRC2:TRAP_HANDLER: 0
; COMPUTE_PGM_RSRC2:TGID_X_EN: 1
; COMPUTE_PGM_RSRC2:TGID_Y_EN: 0
; COMPUTE_PGM_RSRC2:TGID_Z_EN: 0
; COMPUTE_PGM_RSRC2:TIDIG_COMP_CNT: 0
; COMPUTE_PGM_RSRC3_GFX90A:ACCUM_OFFSET: 0
; COMPUTE_PGM_RSRC3_GFX90A:TG_SPLIT: 0
	.text
	.p2alignl 6, 3212836864
	.fill 256, 4, 3212836864
	.type	__hip_cuid_5471b6846a0de547,@object ; @__hip_cuid_5471b6846a0de547
	.section	.bss,"aw",@nobits
	.globl	__hip_cuid_5471b6846a0de547
__hip_cuid_5471b6846a0de547:
	.byte	0                               ; 0x0
	.size	__hip_cuid_5471b6846a0de547, 1

	.ident	"AMD clang version 19.0.0git (https://github.com/RadeonOpenCompute/llvm-project roc-6.4.0 25133 c7fe45cf4b819c5991fe208aaa96edf142730f1d)"
	.section	".note.GNU-stack","",@progbits
	.addrsig
	.addrsig_sym __hip_cuid_5471b6846a0de547
	.amdgpu_metadata
---
amdhsa.kernels:
  - .agpr_count:     0
    .args:           []
    .group_segment_fixed_size: 0
    .kernarg_segment_align: 4
    .kernarg_segment_size: 0
    .language:       OpenCL C
    .language_version:
      - 2
      - 0
    .max_flat_workgroup_size: 1024
    .name:           _ZN2ckL12flush_icacheEv
    .private_segment_fixed_size: 0
    .sgpr_count:     4
    .sgpr_spill_count: 0
    .symbol:         _ZN2ckL12flush_icacheEv.kd
    .uniform_work_group_size: 1
    .uses_dynamic_stack: false
    .vgpr_count:     0
    .vgpr_spill_count: 0
    .wavefront_size: 64
  - .agpr_count:     0
    .args:
      - .offset:         0
        .size:           112
        .value_kind:     by_value
    .group_segment_fixed_size: 32768
    .kernarg_segment_align: 8
    .kernarg_segment_size: 112
    .language:       OpenCL C
    .language_version:
      - 2
      - 0
    .max_flat_workgroup_size: 256
    .name:           _ZN2ck27kernel_gemm_xdl_cshuffle_v3INS_28GridwiseGemm_xdl_cshuffle_v3INS_13tensor_layout4gemm8RowMajorENS3_11ColumnMajorES4_ttfttNS_16tensor_operation12element_wise11PassThroughES8_S8_LNS6_6device18GemmSpecializationE0ELi256ELi128ELi128ELi64ELi8ELi8ELi16ELi16ELi4ELi4ENS_8SequenceIJLi8ELi32ELi1EEEENSB_IJLi1ELi0ELi2EEEESD_Li2ELi8ELi8ELb0ELi0ESC_SD_SD_Li2ELi8ELi8ELb0ELi0ELi1ELi2ENSB_IJLi1ELi32ELi1ELi8EEEELi8ELNS_26BlockGemmPipelineSchedulerE0ELNS_24BlockGemmPipelineVersionE2EttLb0ELb0ELb0ELi0ELb0EEELb1ELNS_25InMemoryDataOperationEnumE1ELi2ELNS_10TailNumberE10EEEvNT_8ArgumentE
    .private_segment_fixed_size: 0
    .sgpr_count:     28
    .sgpr_spill_count: 0
    .symbol:         _ZN2ck27kernel_gemm_xdl_cshuffle_v3INS_28GridwiseGemm_xdl_cshuffle_v3INS_13tensor_layout4gemm8RowMajorENS3_11ColumnMajorES4_ttfttNS_16tensor_operation12element_wise11PassThroughES8_S8_LNS6_6device18GemmSpecializationE0ELi256ELi128ELi128ELi64ELi8ELi8ELi16ELi16ELi4ELi4ENS_8SequenceIJLi8ELi32ELi1EEEENSB_IJLi1ELi0ELi2EEEESD_Li2ELi8ELi8ELb0ELi0ESC_SD_SD_Li2ELi8ELi8ELb0ELi0ELi1ELi2ENSB_IJLi1ELi32ELi1ELi8EEEELi8ELNS_26BlockGemmPipelineSchedulerE0ELNS_24BlockGemmPipelineVersionE2EttLb0ELb0ELb0ELi0ELb0EEELb1ELNS_25InMemoryDataOperationEnumE1ELi2ELNS_10TailNumberE10EEEvNT_8ArgumentE.kd
    .uniform_work_group_size: 1
    .uses_dynamic_stack: false
    .vgpr_count:     197
    .vgpr_spill_count: 0
    .wavefront_size: 64
  - .agpr_count:     0
    .args:
      - .offset:         0
        .size:           112
        .value_kind:     by_value
    .group_segment_fixed_size: 32768
    .kernarg_segment_align: 8
    .kernarg_segment_size: 112
    .language:       OpenCL C
    .language_version:
      - 2
      - 0
    .max_flat_workgroup_size: 256
    .name:           _ZN2ck27kernel_gemm_xdl_cshuffle_v3INS_28GridwiseGemm_xdl_cshuffle_v3INS_13tensor_layout4gemm8RowMajorENS3_11ColumnMajorES4_ttfttNS_16tensor_operation12element_wise11PassThroughES8_S8_LNS6_6device18GemmSpecializationE0ELi256ELi128ELi128ELi64ELi8ELi8ELi16ELi16ELi4ELi4ENS_8SequenceIJLi8ELi32ELi1EEEENSB_IJLi1ELi0ELi2EEEESD_Li2ELi8ELi8ELb0ELi0ESC_SD_SD_Li2ELi8ELi8ELb0ELi0ELi1ELi2ENSB_IJLi1ELi32ELi1ELi8EEEELi8ELNS_26BlockGemmPipelineSchedulerE0ELNS_24BlockGemmPipelineVersionE2EttLb0ELb0ELb0ELi0ELb0EEELb1ELNS_25InMemoryDataOperationEnumE0ELi2ELNS_10TailNumberE10EEEvNT_8ArgumentE
    .private_segment_fixed_size: 0
    .sgpr_count:     33
    .sgpr_spill_count: 0
    .symbol:         _ZN2ck27kernel_gemm_xdl_cshuffle_v3INS_28GridwiseGemm_xdl_cshuffle_v3INS_13tensor_layout4gemm8RowMajorENS3_11ColumnMajorES4_ttfttNS_16tensor_operation12element_wise11PassThroughES8_S8_LNS6_6device18GemmSpecializationE0ELi256ELi128ELi128ELi64ELi8ELi8ELi16ELi16ELi4ELi4ENS_8SequenceIJLi8ELi32ELi1EEEENSB_IJLi1ELi0ELi2EEEESD_Li2ELi8ELi8ELb0ELi0ESC_SD_SD_Li2ELi8ELi8ELb0ELi0ELi1ELi2ENSB_IJLi1ELi32ELi1ELi8EEEELi8ELNS_26BlockGemmPipelineSchedulerE0ELNS_24BlockGemmPipelineVersionE2EttLb0ELb0ELb0ELi0ELb0EEELb1ELNS_25InMemoryDataOperationEnumE0ELi2ELNS_10TailNumberE10EEEvNT_8ArgumentE.kd
    .uniform_work_group_size: 1
    .uses_dynamic_stack: false
    .vgpr_count:     195
    .vgpr_spill_count: 0
    .wavefront_size: 64
  - .agpr_count:     0
    .args:
      - .offset:         0
        .size:           112
        .value_kind:     by_value
    .group_segment_fixed_size: 0
    .kernarg_segment_align: 8
    .kernarg_segment_size: 112
    .language:       OpenCL C
    .language_version:
      - 2
      - 0
    .max_flat_workgroup_size: 256
    .name:           _ZN2ck27kernel_gemm_xdl_cshuffle_v3INS_28GridwiseGemm_xdl_cshuffle_v3INS_13tensor_layout4gemm8RowMajorENS3_11ColumnMajorES4_ttfttNS_16tensor_operation12element_wise11PassThroughES8_S8_LNS6_6device18GemmSpecializationE0ELi256ELi128ELi128ELi64ELi8ELi8ELi16ELi16ELi4ELi2ENS_8SequenceIJLi8ELi32ELi1EEEENSB_IJLi1ELi0ELi2EEEESD_Li2ELi8ELi8ELb0ELi0ESC_SD_SD_Li2ELi8ELi8ELb0ELi0ELi1ELi2ENSB_IJLi1ELi32ELi1ELi8EEEELi8ELNS_26BlockGemmPipelineSchedulerE0ELNS_24BlockGemmPipelineVersionE2EttLb0ELb0ELb0ELi0ELb0EEELb1ELNS_25InMemoryDataOperationEnumE1ELi2ELNS_10TailNumberE10EEEvNT_8ArgumentE
    .private_segment_fixed_size: 0
    .sgpr_count:     4
    .sgpr_spill_count: 0
    .symbol:         _ZN2ck27kernel_gemm_xdl_cshuffle_v3INS_28GridwiseGemm_xdl_cshuffle_v3INS_13tensor_layout4gemm8RowMajorENS3_11ColumnMajorES4_ttfttNS_16tensor_operation12element_wise11PassThroughES8_S8_LNS6_6device18GemmSpecializationE0ELi256ELi128ELi128ELi64ELi8ELi8ELi16ELi16ELi4ELi2ENS_8SequenceIJLi8ELi32ELi1EEEENSB_IJLi1ELi0ELi2EEEESD_Li2ELi8ELi8ELb0ELi0ESC_SD_SD_Li2ELi8ELi8ELb0ELi0ELi1ELi2ENSB_IJLi1ELi32ELi1ELi8EEEELi8ELNS_26BlockGemmPipelineSchedulerE0ELNS_24BlockGemmPipelineVersionE2EttLb0ELb0ELb0ELi0ELb0EEELb1ELNS_25InMemoryDataOperationEnumE1ELi2ELNS_10TailNumberE10EEEvNT_8ArgumentE.kd
    .uniform_work_group_size: 1
    .uses_dynamic_stack: false
    .vgpr_count:     0
    .vgpr_spill_count: 0
    .wavefront_size: 64
  - .agpr_count:     0
    .args:
      - .offset:         0
        .size:           112
        .value_kind:     by_value
    .group_segment_fixed_size: 0
    .kernarg_segment_align: 8
    .kernarg_segment_size: 112
    .language:       OpenCL C
    .language_version:
      - 2
      - 0
    .max_flat_workgroup_size: 256
    .name:           _ZN2ck27kernel_gemm_xdl_cshuffle_v3INS_28GridwiseGemm_xdl_cshuffle_v3INS_13tensor_layout4gemm8RowMajorENS3_11ColumnMajorES4_ttfttNS_16tensor_operation12element_wise11PassThroughES8_S8_LNS6_6device18GemmSpecializationE0ELi256ELi128ELi128ELi64ELi8ELi8ELi16ELi16ELi4ELi2ENS_8SequenceIJLi8ELi32ELi1EEEENSB_IJLi1ELi0ELi2EEEESD_Li2ELi8ELi8ELb0ELi0ESC_SD_SD_Li2ELi8ELi8ELb0ELi0ELi1ELi2ENSB_IJLi1ELi32ELi1ELi8EEEELi8ELNS_26BlockGemmPipelineSchedulerE0ELNS_24BlockGemmPipelineVersionE2EttLb0ELb0ELb0ELi0ELb0EEELb1ELNS_25InMemoryDataOperationEnumE0ELi2ELNS_10TailNumberE10EEEvNT_8ArgumentE
    .private_segment_fixed_size: 0
    .sgpr_count:     4
    .sgpr_spill_count: 0
    .symbol:         _ZN2ck27kernel_gemm_xdl_cshuffle_v3INS_28GridwiseGemm_xdl_cshuffle_v3INS_13tensor_layout4gemm8RowMajorENS3_11ColumnMajorES4_ttfttNS_16tensor_operation12element_wise11PassThroughES8_S8_LNS6_6device18GemmSpecializationE0ELi256ELi128ELi128ELi64ELi8ELi8ELi16ELi16ELi4ELi2ENS_8SequenceIJLi8ELi32ELi1EEEENSB_IJLi1ELi0ELi2EEEESD_Li2ELi8ELi8ELb0ELi0ESC_SD_SD_Li2ELi8ELi8ELb0ELi0ELi1ELi2ENSB_IJLi1ELi32ELi1ELi8EEEELi8ELNS_26BlockGemmPipelineSchedulerE0ELNS_24BlockGemmPipelineVersionE2EttLb0ELb0ELb0ELi0ELb0EEELb1ELNS_25InMemoryDataOperationEnumE0ELi2ELNS_10TailNumberE10EEEvNT_8ArgumentE.kd
    .uniform_work_group_size: 1
    .uses_dynamic_stack: false
    .vgpr_count:     0
    .vgpr_spill_count: 0
    .wavefront_size: 64
amdhsa.target:   amdgcn-amd-amdhsa--gfx90a
amdhsa.version:
  - 1
  - 2
...

	.end_amdgpu_metadata
